;; amdgpu-corpus repo=ROCm/rocFFT kind=compiled arch=gfx950 opt=O3
	.text
	.amdgcn_target "amdgcn-amd-amdhsa--gfx950"
	.amdhsa_code_object_version 6
	.protected	fft_rtc_fwd_len480_factors_10_8_6_wgs_64_tpt_16_halfLds_sp_ip_CI_unitstride_sbrr_C2R_dirReg ; -- Begin function fft_rtc_fwd_len480_factors_10_8_6_wgs_64_tpt_16_halfLds_sp_ip_CI_unitstride_sbrr_C2R_dirReg
	.globl	fft_rtc_fwd_len480_factors_10_8_6_wgs_64_tpt_16_halfLds_sp_ip_CI_unitstride_sbrr_C2R_dirReg
	.p2align	8
	.type	fft_rtc_fwd_len480_factors_10_8_6_wgs_64_tpt_16_halfLds_sp_ip_CI_unitstride_sbrr_C2R_dirReg,@function
fft_rtc_fwd_len480_factors_10_8_6_wgs_64_tpt_16_halfLds_sp_ip_CI_unitstride_sbrr_C2R_dirReg: ; @fft_rtc_fwd_len480_factors_10_8_6_wgs_64_tpt_16_halfLds_sp_ip_CI_unitstride_sbrr_C2R_dirReg
; %bb.0:
	s_load_dwordx2 s[8:9], s[0:1], 0x50
	s_load_dwordx4 s[4:7], s[0:1], 0x0
	s_load_dwordx2 s[10:11], s[0:1], 0x18
	v_lshrrev_b32_e32 v1, 4, v0
	v_lshl_or_b32 v6, s2, 2, v1
	v_mov_b32_e32 v4, 0
	s_waitcnt lgkmcnt(0)
	v_cmp_lt_u64_e64 s[2:3], s[6:7], 2
	v_mov_b32_e32 v7, v4
	s_and_b64 vcc, exec, s[2:3]
	v_mov_b64_e32 v[2:3], 0
	s_cbranch_vccnz .LBB0_8
; %bb.1:
	s_load_dwordx2 s[2:3], s[0:1], 0x10
	s_add_u32 s12, s10, 8
	s_addc_u32 s13, s11, 0
	s_mov_b64 s[14:15], 1
	v_mov_b64_e32 v[2:3], 0
	s_waitcnt lgkmcnt(0)
	s_add_u32 s16, s2, 8
	s_addc_u32 s17, s3, 0
.LBB0_2:                                ; =>This Inner Loop Header: Depth=1
	s_load_dwordx2 s[18:19], s[16:17], 0x0
                                        ; implicit-def: $vgpr8_vgpr9
	s_waitcnt lgkmcnt(0)
	v_or_b32_e32 v5, s19, v7
	v_cmp_ne_u64_e32 vcc, 0, v[4:5]
	s_and_saveexec_b64 s[2:3], vcc
	s_xor_b64 s[20:21], exec, s[2:3]
	s_cbranch_execz .LBB0_4
; %bb.3:                                ;   in Loop: Header=BB0_2 Depth=1
	v_cvt_f32_u32_e32 v5, s18
	v_cvt_f32_u32_e32 v8, s19
	s_sub_u32 s2, 0, s18
	s_subb_u32 s3, 0, s19
	v_fmac_f32_e32 v5, 0x4f800000, v8
	v_rcp_f32_e32 v5, v5
	s_nop 0
	v_mul_f32_e32 v5, 0x5f7ffffc, v5
	v_mul_f32_e32 v8, 0x2f800000, v5
	v_trunc_f32_e32 v8, v8
	v_fmac_f32_e32 v5, 0xcf800000, v8
	v_cvt_u32_f32_e32 v12, v8
	v_cvt_u32_f32_e32 v5, v5
	v_mul_lo_u32 v8, s2, v12
	v_mul_hi_u32 v10, s2, v5
	v_mul_lo_u32 v9, s3, v5
	v_add_u32_e32 v10, v10, v8
	v_mul_lo_u32 v13, s2, v5
	v_add_u32_e32 v14, v10, v9
	v_mul_hi_u32 v8, v5, v13
	v_mul_hi_u32 v11, v5, v14
	v_mul_lo_u32 v10, v5, v14
	v_mov_b32_e32 v9, v4
	v_lshl_add_u64 v[8:9], v[8:9], 0, v[10:11]
	v_mul_hi_u32 v11, v12, v13
	v_mul_lo_u32 v13, v12, v13
	v_add_co_u32_e32 v8, vcc, v8, v13
	v_mul_hi_u32 v10, v12, v14
	s_nop 0
	v_addc_co_u32_e32 v8, vcc, v9, v11, vcc
	v_mov_b32_e32 v9, v4
	s_nop 0
	v_addc_co_u32_e32 v11, vcc, 0, v10, vcc
	v_mul_lo_u32 v10, v12, v14
	v_lshl_add_u64 v[8:9], v[8:9], 0, v[10:11]
	v_add_co_u32_e32 v5, vcc, v5, v8
	v_mul_lo_u32 v10, s2, v5
	s_nop 0
	v_addc_co_u32_e32 v12, vcc, v12, v9, vcc
	v_mul_lo_u32 v8, s2, v12
	v_mul_hi_u32 v9, s2, v5
	v_add_u32_e32 v8, v9, v8
	v_mul_lo_u32 v9, s3, v5
	v_add_u32_e32 v13, v8, v9
	v_mul_hi_u32 v15, v12, v10
	v_mul_lo_u32 v16, v12, v10
	v_mul_hi_u32 v9, v5, v13
	v_mul_lo_u32 v8, v5, v13
	v_mul_hi_u32 v10, v5, v10
	v_mov_b32_e32 v11, v4
	v_lshl_add_u64 v[8:9], v[10:11], 0, v[8:9]
	v_add_co_u32_e32 v8, vcc, v8, v16
	v_mul_hi_u32 v14, v12, v13
	s_nop 0
	v_addc_co_u32_e32 v8, vcc, v9, v15, vcc
	v_mul_lo_u32 v10, v12, v13
	s_nop 0
	v_addc_co_u32_e32 v11, vcc, 0, v14, vcc
	v_mov_b32_e32 v9, v4
	v_lshl_add_u64 v[8:9], v[8:9], 0, v[10:11]
	v_add_co_u32_e32 v5, vcc, v5, v8
	v_mul_hi_u32 v10, v6, v5
	s_nop 0
	v_addc_co_u32_e32 v12, vcc, v12, v9, vcc
	v_mad_u64_u32 v[8:9], s[2:3], v6, v12, 0
	v_mov_b32_e32 v11, v4
	v_lshl_add_u64 v[8:9], v[10:11], 0, v[8:9]
	v_mad_u64_u32 v[10:11], s[2:3], v7, v12, 0
	v_mad_u64_u32 v[12:13], s[2:3], v7, v5, 0
	v_add_co_u32_e32 v5, vcc, v8, v12
	s_nop 1
	v_addc_co_u32_e32 v8, vcc, v9, v13, vcc
	v_mov_b32_e32 v9, v4
	s_nop 0
	v_addc_co_u32_e32 v11, vcc, 0, v11, vcc
	v_lshl_add_u64 v[8:9], v[8:9], 0, v[10:11]
	v_mul_lo_u32 v5, s19, v8
	v_mul_lo_u32 v12, s18, v9
	v_mad_u64_u32 v[10:11], s[2:3], s18, v8, 0
	v_add3_u32 v5, v11, v12, v5
	v_sub_u32_e32 v11, v7, v5
	v_mov_b32_e32 v12, s19
	v_sub_co_u32_e32 v14, vcc, v6, v10
	s_nop 1
	v_subb_co_u32_e64 v10, s[2:3], v11, v12, vcc
	v_subrev_co_u32_e64 v11, s[2:3], s18, v14
	v_subb_co_u32_e32 v5, vcc, v7, v5, vcc
	s_nop 0
	v_subbrev_co_u32_e64 v10, s[2:3], 0, v10, s[2:3]
	v_cmp_le_u32_e64 s[2:3], s19, v10
	v_cmp_le_u32_e32 vcc, s19, v5
	s_nop 0
	v_cndmask_b32_e64 v12, 0, -1, s[2:3]
	v_cmp_le_u32_e64 s[2:3], s18, v11
	s_nop 1
	v_cndmask_b32_e64 v11, 0, -1, s[2:3]
	v_cmp_eq_u32_e64 s[2:3], s19, v10
	s_nop 1
	v_cndmask_b32_e64 v15, v12, v11, s[2:3]
	v_lshl_add_u64 v[10:11], v[8:9], 0, 2
	v_lshl_add_u64 v[12:13], v[8:9], 0, 1
	v_cmp_ne_u32_e64 s[2:3], 0, v15
	s_nop 1
	v_cndmask_b32_e64 v11, v13, v11, s[2:3]
	v_cndmask_b32_e64 v13, 0, -1, vcc
	v_cmp_le_u32_e32 vcc, s18, v14
	s_nop 1
	v_cndmask_b32_e64 v14, 0, -1, vcc
	v_cmp_eq_u32_e32 vcc, s19, v5
	s_nop 1
	v_cndmask_b32_e32 v5, v13, v14, vcc
	v_cmp_ne_u32_e32 vcc, 0, v5
	v_cndmask_b32_e64 v5, v12, v10, s[2:3]
	s_nop 0
	v_cndmask_b32_e32 v9, v9, v11, vcc
	v_cndmask_b32_e32 v8, v8, v5, vcc
.LBB0_4:                                ;   in Loop: Header=BB0_2 Depth=1
	s_andn2_saveexec_b64 s[2:3], s[20:21]
	s_cbranch_execz .LBB0_6
; %bb.5:                                ;   in Loop: Header=BB0_2 Depth=1
	v_cvt_f32_u32_e32 v5, s18
	s_sub_i32 s20, 0, s18
	v_rcp_iflag_f32_e32 v5, v5
	s_nop 0
	v_mul_f32_e32 v5, 0x4f7ffffe, v5
	v_cvt_u32_f32_e32 v5, v5
	v_mul_lo_u32 v8, s20, v5
	v_mul_hi_u32 v8, v5, v8
	v_add_u32_e32 v5, v5, v8
	v_mul_hi_u32 v5, v6, v5
	v_mul_lo_u32 v8, v5, s18
	v_sub_u32_e32 v8, v6, v8
	v_add_u32_e32 v9, 1, v5
	v_subrev_u32_e32 v10, s18, v8
	v_cmp_le_u32_e32 vcc, s18, v8
	s_nop 1
	v_cndmask_b32_e32 v8, v8, v10, vcc
	v_cndmask_b32_e32 v5, v5, v9, vcc
	v_add_u32_e32 v9, 1, v5
	v_cmp_le_u32_e32 vcc, s18, v8
	s_nop 1
	v_cndmask_b32_e32 v8, v5, v9, vcc
	v_mov_b32_e32 v9, v4
.LBB0_6:                                ;   in Loop: Header=BB0_2 Depth=1
	s_or_b64 exec, exec, s[2:3]
	v_mad_u64_u32 v[10:11], s[2:3], v8, s18, 0
	s_load_dwordx2 s[2:3], s[12:13], 0x0
	v_mul_lo_u32 v5, v9, s18
	v_mul_lo_u32 v12, v8, s19
	v_add3_u32 v5, v11, v12, v5
	v_sub_co_u32_e32 v6, vcc, v6, v10
	s_add_u32 s14, s14, 1
	s_nop 0
	v_subb_co_u32_e32 v5, vcc, v7, v5, vcc
	s_addc_u32 s15, s15, 0
	s_waitcnt lgkmcnt(0)
	v_mul_lo_u32 v5, s2, v5
	v_mul_lo_u32 v7, s3, v6
	v_mad_u64_u32 v[2:3], s[2:3], s2, v6, v[2:3]
	s_add_u32 s12, s12, 8
	v_add3_u32 v3, v7, v3, v5
	s_addc_u32 s13, s13, 0
	v_mov_b64_e32 v[6:7], s[6:7]
	s_add_u32 s16, s16, 8
	v_cmp_ge_u64_e32 vcc, s[14:15], v[6:7]
	s_addc_u32 s17, s17, 0
	s_cbranch_vccnz .LBB0_9
; %bb.7:                                ;   in Loop: Header=BB0_2 Depth=1
	v_mov_b64_e32 v[6:7], v[8:9]
	s_branch .LBB0_2
.LBB0_8:
	v_mov_b64_e32 v[8:9], v[6:7]
.LBB0_9:
	s_lshl_b64 s[2:3], s[6:7], 3
	s_add_u32 s2, s10, s2
	s_addc_u32 s3, s11, s3
	s_load_dwordx2 s[6:7], s[2:3], 0x0
	s_load_dwordx2 s[10:11], s[0:1], 0x20
	v_mul_u32_u24_e32 v82, 0x1e1, v1
	v_and_b32_e32 v62, 15, v0
	v_lshlrev_b32_e32 v83, 3, v82
	s_waitcnt lgkmcnt(0)
	v_mul_lo_u32 v4, s6, v9
	v_mul_lo_u32 v5, s7, v8
	v_mad_u64_u32 v[2:3], s[0:1], s6, v8, v[2:3]
	v_add3_u32 v3, v5, v3, v4
	v_cmp_gt_u64_e32 vcc, s[10:11], v[8:9]
	v_lshl_add_u64 v[60:61], v[2:3], 3, s[8:9]
	s_and_saveexec_b64 s[2:3], vcc
	s_cbranch_execz .LBB0_13
; %bb.10:
	v_lshlrev_b32_e32 v0, 3, v62
	v_mov_b32_e32 v1, 0
	v_lshl_add_u64 v[2:3], v[60:61], 0, v[0:1]
	global_load_dwordx2 v[4:5], v[2:3], off
	global_load_dwordx2 v[6:7], v[2:3], off offset:128
	global_load_dwordx2 v[8:9], v[2:3], off offset:256
	;; [unrolled: 1-line block ×29, first 2 shown]
	v_add3_u32 v0, 0, v83, v0
	v_cmp_eq_u32_e64 s[0:1], 15, v62
	v_add_u32_e32 v1, 0x800, v0
	s_waitcnt vmcnt(28)
	ds_write2_b64 v0, v[4:5], v[6:7] offset1:16
	s_waitcnt vmcnt(26)
	ds_write2_b64 v0, v[8:9], v[10:11] offset0:32 offset1:48
	s_waitcnt vmcnt(24)
	ds_write2_b64 v0, v[12:13], v[14:15] offset0:64 offset1:80
	;; [unrolled: 2-line block ×7, first 2 shown]
	s_waitcnt vmcnt(12)
	ds_write2_b64 v1, v[36:37], v[38:39] offset1:16
	s_waitcnt vmcnt(10)
	ds_write2_b64 v1, v[40:41], v[42:43] offset0:32 offset1:48
	s_waitcnt vmcnt(8)
	ds_write2_b64 v1, v[44:45], v[46:47] offset0:64 offset1:80
	;; [unrolled: 2-line block ×6, first 2 shown]
	s_and_saveexec_b64 s[6:7], s[0:1]
	s_cbranch_execz .LBB0_12
; %bb.11:
	global_load_dwordx2 v[2:3], v[60:61], off offset:3840
	v_mov_b32_e32 v62, 15
	s_waitcnt vmcnt(0)
	ds_write_b64 v0, v[2:3] offset:3720
.LBB0_12:
	s_or_b64 exec, exec, s[6:7]
.LBB0_13:
	s_or_b64 exec, exec, s[2:3]
	v_lshl_add_u32 v80, v82, 3, 0
	v_lshlrev_b32_e32 v4, 3, v62
	v_add_u32_e32 v81, v80, v4
	s_waitcnt lgkmcnt(0)
	; wave barrier
	s_waitcnt lgkmcnt(0)
	v_sub_u32_e32 v12, v80, v4
	ds_read_b32 v0, v81
	ds_read_b32 v1, v12 offset:3840
	v_cmp_ne_u32_e64 s[0:1], 0, v62
	s_waitcnt lgkmcnt(0)
	v_add_f32_e32 v2, v1, v0
	v_sub_f32_e32 v3, v0, v1
                                        ; implicit-def: $vgpr0_vgpr1
	s_and_saveexec_b64 s[2:3], s[0:1]
	s_xor_b64 s[0:1], exec, s[2:3]
	s_cbranch_execz .LBB0_15
; %bb.14:
	global_load_dwordx2 v[4:5], v4, s[4:5] offset:3760
	ds_read_b32 v9, v12 offset:3844
	ds_read_b32 v10, v81 offset:4
	v_mov_b32_e32 v6, v3
	v_mov_b32_e32 v8, v2
	;; [unrolled: 1-line block ×4, first 2 shown]
	s_waitcnt lgkmcnt(0)
	v_add_f32_e32 v7, v9, v10
	v_sub_f32_e32 v9, v10, v9
	v_mov_b32_e32 v10, v7
	v_mov_b64_e32 v[0:1], v[62:63]
	s_waitcnt vmcnt(0)
	v_pk_mul_f32 v[14:15], v[6:7], v[4:5] op_sel:[0,1]
	v_pk_fma_f32 v[6:7], v[6:7], v[4:5], v[8:9] op_sel:[0,1,0]
	v_mov_b32_e32 v3, v15
	v_mov_b32_e32 v15, v9
	v_pk_fma_f32 v[16:17], v[4:5], v[10:11], v[6:7] neg_lo:[1,0,0] neg_hi:[1,0,0]
	v_pk_fma_f32 v[6:7], v[4:5], v[10:11], v[6:7] op_sel_hi:[0,1,1]
	v_pk_add_f32 v[2:3], v[2:3], v[14:15] neg_lo:[0,1] neg_hi:[0,1]
	v_mov_b32_e32 v17, v7
	v_pk_fma_f32 v[2:3], v[4:5], v[10:11], v[2:3] op_sel_hi:[0,1,1]
	ds_write_b64 v12, v[2:3] offset:3840
	v_mov_b64_e32 v[2:3], v[16:17]
.LBB0_15:
	s_andn2_saveexec_b64 s[0:1], s[0:1]
	s_cbranch_execz .LBB0_17
; %bb.16:
	ds_read_b64 v[0:1], v80 offset:1920
	s_mov_b32 s2, 2.0
	s_mov_b32 s3, -2.0
	s_waitcnt lgkmcnt(0)
	v_pk_mul_f32 v[0:1], v[0:1], s[2:3]
	ds_write_b64 v80, v[0:1] offset:1920
	v_mov_b64_e32 v[0:1], 0
.LBB0_17:
	s_or_b64 exec, exec, s[0:1]
	s_add_u32 s0, s4, 0xeb0
	s_addc_u32 s1, s5, 0
	v_lshl_add_u64 v[0:1], v[0:1], 3, s[0:1]
	global_load_dwordx2 v[4:5], v[0:1], off offset:128
	global_load_dwordx2 v[6:7], v[0:1], off offset:256
	;; [unrolled: 1-line block ×4, first 2 shown]
	ds_write_b64 v81, v[2:3]
	ds_read_b64 v[14:15], v81 offset:128
	ds_read_b64 v[16:17], v12 offset:3712
	global_load_dwordx2 v[2:3], v[0:1], off offset:640
	v_lshl_add_u32 v84, v62, 3, 0
	v_add_u32_e32 v63, v84, v83
	v_add_u32_e32 v85, 0x800, v63
	s_waitcnt lgkmcnt(0)
	v_pk_add_f32 v[18:19], v[14:15], v[16:17]
	v_pk_add_f32 v[14:15], v[14:15], v[16:17] neg_lo:[0,1] neg_hi:[0,1]
	v_mov_b32_e32 v16, v19
	v_mov_b32_e32 v17, v14
	;; [unrolled: 1-line block ×3, first 2 shown]
	s_mov_b32 s2, 0x3f737871
	s_mov_b32 s6, 0x3f167918
	;; [unrolled: 1-line block ×11, first 2 shown]
	s_waitcnt vmcnt(4)
	v_pk_mul_f32 v[20:21], v[16:17], v[4:5] op_sel:[0,1]
	s_nop 0
	v_pk_add_f32 v[22:23], v[18:19], v[20:21] op_sel:[0,1] op_sel_hi:[1,0]
	v_mov_b32_e32 v19, v20
	v_mov_b32_e32 v14, v21
	v_pk_fma_f32 v[20:21], v[4:5], v[16:17], v[22:23] neg_lo:[1,0,0] neg_hi:[1,0,0]
	v_pk_fma_f32 v[22:23], v[4:5], v[16:17], v[22:23] op_sel_hi:[0,1,1]
	v_pk_add_f32 v[14:15], v[18:19], v[14:15] neg_lo:[0,1] neg_hi:[0,1]
	v_mov_b32_e32 v21, v23
	v_pk_fma_f32 v[4:5], v[4:5], v[16:17], v[14:15] op_sel_hi:[0,1,1]
	ds_write_b64 v81, v[20:21] offset:128
	ds_write_b64 v12, v[4:5] offset:3712
	ds_read_b64 v[14:15], v12 offset:3584
	ds_read_b64 v[16:17], v81 offset:256
	global_load_dwordx2 v[4:5], v[0:1], off offset:768
	s_waitcnt lgkmcnt(0)
	v_pk_add_f32 v[18:19], v[16:17], v[14:15]
	v_pk_add_f32 v[14:15], v[16:17], v[14:15] neg_lo:[0,1] neg_hi:[0,1]
	v_mov_b32_e32 v16, v19
	v_mov_b32_e32 v17, v14
	v_mov_b32_e32 v19, v15
	s_waitcnt vmcnt(4)
	v_pk_mul_f32 v[20:21], v[16:17], v[6:7] op_sel:[0,1]
	s_nop 0
	v_pk_add_f32 v[22:23], v[18:19], v[20:21] op_sel:[0,1] op_sel_hi:[1,0]
	v_mov_b32_e32 v19, v20
	v_mov_b32_e32 v14, v21
	v_pk_fma_f32 v[20:21], v[6:7], v[16:17], v[22:23] neg_lo:[1,0,0] neg_hi:[1,0,0]
	v_pk_fma_f32 v[22:23], v[6:7], v[16:17], v[22:23] op_sel_hi:[0,1,1]
	v_pk_add_f32 v[14:15], v[18:19], v[14:15] neg_lo:[0,1] neg_hi:[0,1]
	v_mov_b32_e32 v21, v23
	v_pk_fma_f32 v[6:7], v[6:7], v[16:17], v[14:15] op_sel_hi:[0,1,1]
	ds_write_b64 v81, v[20:21] offset:256
	ds_write_b64 v12, v[6:7] offset:3584
	ds_read_b64 v[14:15], v12 offset:3456
	ds_read_b64 v[16:17], v81 offset:384
	global_load_dwordx2 v[6:7], v[0:1], off offset:896
	s_waitcnt lgkmcnt(0)
	v_pk_add_f32 v[18:19], v[16:17], v[14:15]
	v_pk_add_f32 v[14:15], v[16:17], v[14:15] neg_lo:[0,1] neg_hi:[0,1]
	v_mov_b32_e32 v16, v19
	v_mov_b32_e32 v17, v14
	v_mov_b32_e32 v19, v15
	;; [unrolled: 22-line block ×9, first 2 shown]
	s_waitcnt vmcnt(4)
	v_pk_mul_f32 v[18:19], v[8:9], v[2:3] op_sel:[0,1]
	s_nop 0
	v_pk_add_f32 v[20:21], v[10:11], v[18:19] op_sel:[0,1] op_sel_hi:[1,0]
	v_mov_b32_e32 v11, v18
	v_mov_b32_e32 v6, v19
	v_pk_fma_f32 v[18:19], v[2:3], v[8:9], v[20:21] neg_lo:[1,0,0] neg_hi:[1,0,0]
	v_pk_fma_f32 v[20:21], v[2:3], v[8:9], v[20:21] op_sel_hi:[0,1,1]
	v_pk_add_f32 v[6:7], v[10:11], v[6:7] neg_lo:[0,1] neg_hi:[0,1]
	v_mov_b32_e32 v19, v21
	v_pk_fma_f32 v[2:3], v[2:3], v[8:9], v[6:7] op_sel_hi:[0,1,1]
	ds_write_b64 v81, v[18:19] offset:1280
	ds_write_b64 v12, v[2:3] offset:2560
	ds_read_b64 v[2:3], v12 offset:2432
	ds_read_b64 v[6:7], v81 offset:1408
	s_waitcnt lgkmcnt(0)
	v_pk_add_f32 v[8:9], v[6:7], v[2:3]
	v_pk_add_f32 v[2:3], v[6:7], v[2:3] neg_lo:[0,1] neg_hi:[0,1]
	v_mov_b32_e32 v6, v9
	v_mov_b32_e32 v7, v2
	;; [unrolled: 1-line block ×3, first 2 shown]
	s_waitcnt vmcnt(3)
	v_pk_mul_f32 v[10:11], v[6:7], v[4:5] op_sel:[0,1]
	s_nop 0
	v_pk_add_f32 v[18:19], v[8:9], v[10:11] op_sel:[0,1] op_sel_hi:[1,0]
	v_mov_b32_e32 v9, v10
	v_mov_b32_e32 v2, v11
	v_pk_fma_f32 v[20:21], v[4:5], v[6:7], v[18:19] neg_lo:[1,0,0] neg_hi:[1,0,0]
	v_pk_fma_f32 v[18:19], v[4:5], v[6:7], v[18:19] op_sel_hi:[0,1,1]
	v_pk_add_f32 v[2:3], v[8:9], v[2:3] neg_lo:[0,1] neg_hi:[0,1]
	v_mov_b32_e32 v21, v19
	v_pk_fma_f32 v[2:3], v[4:5], v[6:7], v[2:3] op_sel_hi:[0,1,1]
	ds_write_b64 v81, v[20:21] offset:1408
	ds_write_b64 v12, v[2:3] offset:2432
	ds_read_b64 v[2:3], v12 offset:2304
	ds_read_b64 v[4:5], v81 offset:1536
	v_add_u32_e32 v20, 0x400, v63
	s_waitcnt lgkmcnt(0)
	v_pk_add_f32 v[6:7], v[4:5], v[2:3]
	v_pk_add_f32 v[2:3], v[4:5], v[2:3] neg_lo:[0,1] neg_hi:[0,1]
	v_mov_b32_e32 v4, v7
	v_mov_b32_e32 v5, v2
	v_mov_b32_e32 v7, v3
	s_waitcnt vmcnt(2)
	v_pk_mul_f32 v[8:9], v[4:5], v[16:17] op_sel:[0,1]
	s_nop 0
	v_pk_add_f32 v[10:11], v[6:7], v[8:9] op_sel:[0,1] op_sel_hi:[1,0]
	v_mov_b32_e32 v7, v8
	v_mov_b32_e32 v2, v9
	v_pk_fma_f32 v[18:19], v[16:17], v[4:5], v[10:11] neg_lo:[1,0,0] neg_hi:[1,0,0]
	v_pk_fma_f32 v[10:11], v[16:17], v[4:5], v[10:11] op_sel_hi:[0,1,1]
	v_pk_add_f32 v[2:3], v[6:7], v[2:3] neg_lo:[0,1] neg_hi:[0,1]
	v_mov_b32_e32 v19, v11
	v_pk_fma_f32 v[2:3], v[16:17], v[4:5], v[2:3] op_sel_hi:[0,1,1]
	ds_write_b64 v81, v[18:19] offset:1536
	ds_write_b64 v12, v[2:3] offset:2304
	ds_read_b64 v[2:3], v12 offset:2176
	ds_read_b64 v[4:5], v81 offset:1664
	s_waitcnt lgkmcnt(0)
	v_pk_add_f32 v[6:7], v[4:5], v[2:3]
	v_pk_add_f32 v[2:3], v[4:5], v[2:3] neg_lo:[0,1] neg_hi:[0,1]
	v_mov_b32_e32 v4, v7
	v_mov_b32_e32 v5, v2
	;; [unrolled: 1-line block ×3, first 2 shown]
	s_waitcnt vmcnt(1)
	v_pk_mul_f32 v[8:9], v[4:5], v[14:15] op_sel:[0,1]
	s_nop 0
	v_pk_add_f32 v[10:11], v[6:7], v[8:9] op_sel:[0,1] op_sel_hi:[1,0]
	v_mov_b32_e32 v7, v8
	v_mov_b32_e32 v2, v9
	v_pk_fma_f32 v[16:17], v[14:15], v[4:5], v[10:11] neg_lo:[1,0,0] neg_hi:[1,0,0]
	v_pk_fma_f32 v[10:11], v[14:15], v[4:5], v[10:11] op_sel_hi:[0,1,1]
	v_pk_add_f32 v[2:3], v[6:7], v[2:3] neg_lo:[0,1] neg_hi:[0,1]
	v_mov_b32_e32 v17, v11
	v_pk_fma_f32 v[2:3], v[14:15], v[4:5], v[2:3] op_sel_hi:[0,1,1]
	ds_write_b64 v81, v[16:17] offset:1664
	ds_write_b64 v12, v[2:3] offset:2176
	ds_read_b64 v[2:3], v12 offset:2048
	ds_read_b64 v[4:5], v81 offset:1792
	s_waitcnt lgkmcnt(0)
	v_pk_add_f32 v[6:7], v[4:5], v[2:3]
	v_pk_add_f32 v[2:3], v[4:5], v[2:3] neg_lo:[0,1] neg_hi:[0,1]
	v_mov_b32_e32 v4, v7
	v_mov_b32_e32 v5, v2
	;; [unrolled: 1-line block ×3, first 2 shown]
	s_waitcnt vmcnt(0)
	v_pk_mul_f32 v[8:9], v[4:5], v[0:1] op_sel:[0,1]
	s_nop 0
	v_pk_add_f32 v[10:11], v[6:7], v[8:9] op_sel:[0,1] op_sel_hi:[1,0]
	v_mov_b32_e32 v7, v8
	v_mov_b32_e32 v2, v9
	v_pk_fma_f32 v[14:15], v[0:1], v[4:5], v[10:11] neg_lo:[1,0,0] neg_hi:[1,0,0]
	v_pk_fma_f32 v[10:11], v[0:1], v[4:5], v[10:11] op_sel_hi:[0,1,1]
	v_pk_add_f32 v[2:3], v[6:7], v[2:3] neg_lo:[0,1] neg_hi:[0,1]
	v_mov_b32_e32 v15, v11
	v_pk_fma_f32 v[0:1], v[0:1], v[4:5], v[2:3] op_sel_hi:[0,1,1]
	ds_write_b64 v81, v[14:15] offset:1792
	ds_write_b64 v12, v[0:1] offset:2048
	s_waitcnt lgkmcnt(0)
	; wave barrier
	s_waitcnt lgkmcnt(0)
	s_waitcnt lgkmcnt(0)
	; wave barrier
	s_waitcnt lgkmcnt(0)
	ds_read2_b64 v[16:19], v63 offset0:16 offset1:32
	ds_read2_b64 v[48:51], v63 offset0:80 offset1:96
	;; [unrolled: 1-line block ×13, first 2 shown]
	ds_read_b64 v[58:59], v81
	s_waitcnt lgkmcnt(10)
	v_pk_add_f32 v[54:55], v[42:43], v[50:51] neg_lo:[0,1] neg_hi:[0,1]
	s_waitcnt lgkmcnt(8)
	v_pk_add_f32 v[64:65], v[42:43], v[46:47] neg_lo:[0,1] neg_hi:[0,1]
	;; [unrolled: 2-line block ×4, first 2 shown]
	v_pk_add_f32 v[78:79], v[54:55], v[68:69]
	s_waitcnt lgkmcnt(1)
	v_pk_add_f32 v[54:55], v[28:29], v[24:25]
	v_pk_add_f32 v[72:73], v[28:29], v[24:25] neg_lo:[0,1] neg_hi:[0,1]
	v_pk_fma_f32 v[54:55], v[54:55], 0.5, v[36:37] op_sel_hi:[1,0,1] neg_lo:[1,0,0] neg_hi:[1,0,0]
	v_pk_mul_f32 v[68:69], v[70:71], s[2:3] op_sel_hi:[1,0]
	v_pk_add_f32 v[76:77], v[32:33], v[28:29] neg_lo:[0,1] neg_hi:[0,1]
	v_pk_add_f32 v[86:87], v[20:21], v[24:25] neg_lo:[0,1] neg_hi:[0,1]
	v_pk_mul_f32 v[74:75], v[72:73], s[6:7] op_sel_hi:[1,0]
	v_pk_add_f32 v[76:77], v[76:77], v[86:87]
	v_pk_add_f32 v[86:87], v[54:55], v[68:69] op_sel:[0,1] op_sel_hi:[1,0] neg_lo:[0,1] neg_hi:[0,1]
	v_pk_add_f32 v[54:55], v[54:55], v[68:69] op_sel:[0,1] op_sel_hi:[1,0]
	v_pk_add_f32 v[52:53], v[50:51], v[2:3]
	v_pk_add_f32 v[88:89], v[54:55], v[74:75] op_sel:[0,1] op_sel_hi:[1,0] neg_lo:[0,1] neg_hi:[0,1]
	v_pk_add_f32 v[54:55], v[86:87], v[74:75] op_sel:[0,1] op_sel_hi:[1,0]
	v_mov_b32_e32 v69, v89
	v_mov_b32_e32 v68, v54
	v_pk_fma_f32 v[74:75], v[76:77], s[0:1], v[68:69] op_sel_hi:[1,0,1]
	v_pk_add_f32 v[66:67], v[50:51], v[2:3] neg_lo:[0,1] neg_hi:[0,1]
	v_pk_mul_f32 v[86:87], v[74:75], s[2:3] op_sel_hi:[1,0]
	s_waitcnt lgkmcnt(0)
	v_pk_fma_f32 v[52:53], v[52:53], 0.5, v[58:59] op_sel_hi:[1,0,1] neg_lo:[1,0,0] neg_hi:[1,0,0]
	v_pk_fma_f32 v[68:69], v[74:75], s[0:1], v[86:87] op_sel:[0,0,1] op_sel_hi:[1,0,0]
	v_pk_fma_f32 v[74:75], v[74:75], s[0:1], v[86:87] op_sel:[0,0,1] op_sel_hi:[1,0,0] neg_lo:[0,0,1] neg_hi:[0,0,1]
	v_mov_b32_e32 v89, v55
	v_mov_b32_e32 v69, v75
	v_pk_mul_f32 v[74:75], v[64:65], s[2:3] op_sel_hi:[1,0]
	ds_read_b64 v[56:57], v63 offset:3712
	v_pk_add_f32 v[86:87], v[52:53], v[74:75] op_sel:[0,1] op_sel_hi:[1,0] neg_lo:[0,1] neg_hi:[0,1]
	v_pk_add_f32 v[52:53], v[52:53], v[74:75] op_sel:[0,1] op_sel_hi:[1,0]
	v_pk_mul_f32 v[74:75], v[66:67], s[6:7] op_sel_hi:[1,0]
	v_pk_add_f32 v[92:93], v[58:59], v[50:51]
	v_pk_add_f32 v[90:91], v[52:53], v[74:75] op_sel:[0,1] op_sel_hi:[1,0] neg_lo:[0,1] neg_hi:[0,1]
	v_pk_add_f32 v[86:87], v[86:87], v[74:75] op_sel:[0,1] op_sel_hi:[1,0]
	v_pk_fma_f32 v[74:75], v[76:77], s[0:1], v[88:89] op_sel_hi:[1,0,1]
	ds_read2_b64 v[52:55], v85 offset0:144 offset1:160
	v_pk_mul_f32 v[76:77], v[74:75], s[0:1] op_sel_hi:[1,0]
	s_waitcnt lgkmcnt(0)
	v_pk_fma_f32 v[74:75], v[74:75], s[14:15], v[76:77] op_sel:[0,0,1] op_sel_hi:[1,1,0] neg_lo:[0,0,1] neg_hi:[0,0,1]
	v_mov_b32_e32 v76, v86
	v_mov_b32_e32 v77, v91
	;; [unrolled: 1-line block ×3, first 2 shown]
	v_mul_u32_u24_e32 v86, 10, v62
	v_pk_fma_f32 v[76:77], v[78:79], s[0:1], v[76:77] op_sel_hi:[1,0,1]
	v_pk_fma_f32 v[78:79], v[78:79], s[0:1], v[90:91] op_sel_hi:[1,0,1]
	v_lshlrev_b32_e32 v86, 3, v86
	v_add3_u32 v86, 0, v86, v83
	v_pk_add_f32 v[88:89], v[76:77], v[68:69]
	v_pk_add_f32 v[90:91], v[78:79], v[74:75] op_sel:[0,1] op_sel_hi:[1,0]
	; wave barrier
	ds_write2_b64 v86, v[88:89], v[90:91] offset0:2 offset1:3
	v_pk_add_f32 v[88:89], v[40:41], v[56:57]
	v_pk_add_f32 v[90:91], v[44:45], v[0:1]
	v_pk_fma_f32 v[88:89], v[88:89], 0.5, v[48:49] op_sel_hi:[1,0,1] neg_lo:[1,0,0] neg_hi:[1,0,0]
	v_pk_fma_f32 v[90:91], v[90:91], 0.5, v[48:49] op_sel_hi:[1,0,1] neg_lo:[1,0,0] neg_hi:[1,0,0]
	v_pk_add_f32 v[48:49], v[48:49], v[40:41]
	v_pk_add_f32 v[94:95], v[50:51], v[42:43] neg_lo:[0,1] neg_hi:[0,1]
	v_pk_add_f32 v[50:51], v[92:93], v[42:43]
	v_pk_add_f32 v[92:93], v[40:41], v[44:45] neg_lo:[0,1] neg_hi:[0,1]
	v_pk_add_f32 v[96:97], v[40:41], v[56:57] neg_lo:[0,1] neg_hi:[0,1]
	;; [unrolled: 1-line block ×3, first 2 shown]
	v_pk_add_f32 v[100:101], v[42:43], v[46:47]
	v_pk_add_f32 v[40:41], v[48:49], v[44:45]
	;; [unrolled: 1-line block ×3, first 2 shown]
	v_pk_add_f32 v[102:103], v[2:3], v[46:47] neg_lo:[0,1] neg_hi:[0,1]
	v_pk_add_f32 v[46:47], v[6:7], v[10:11] neg_lo:[0,1] neg_hi:[0,1]
	;; [unrolled: 1-line block ×3, first 2 shown]
	v_pk_add_f32 v[40:41], v[40:41], v[0:1]
	v_pk_add_f32 v[46:47], v[46:47], v[48:49]
	;; [unrolled: 1-line block ×3, first 2 shown]
	v_pk_add_f32 v[50:51], v[6:7], v[54:55] neg_lo:[0,1] neg_hi:[0,1]
	v_pk_add_f32 v[44:45], v[44:45], v[0:1] neg_lo:[0,1] neg_hi:[0,1]
	v_pk_add_f32 v[2:3], v[42:43], v[2:3]
	v_pk_add_f32 v[42:43], v[56:57], v[0:1] neg_lo:[0,1] neg_hi:[0,1]
	v_pk_add_f32 v[0:1], v[0:1], v[56:57] neg_lo:[0,1] neg_hi:[0,1]
	v_pk_add_f32 v[40:41], v[40:41], v[56:57]
	v_pk_fma_f32 v[48:49], v[48:49], 0.5, v[18:19] op_sel_hi:[1,0,1] neg_lo:[1,0,0] neg_hi:[1,0,0]
	v_pk_mul_f32 v[56:57], v[50:51], s[2:3] op_sel_hi:[1,0]
	v_pk_add_f32 v[42:43], v[92:93], v[42:43]
	v_pk_add_f32 v[92:93], v[48:49], v[56:57] op_sel:[0,1] op_sel_hi:[1,0] neg_lo:[0,1] neg_hi:[0,1]
	v_pk_add_f32 v[48:49], v[48:49], v[56:57] op_sel:[0,1] op_sel_hi:[1,0]
	v_pk_add_f32 v[56:57], v[6:7], v[54:55]
	v_pk_add_f32 v[104:105], v[10:11], v[14:15] neg_lo:[0,1] neg_hi:[0,1]
	v_pk_fma_f32 v[56:57], v[56:57], 0.5, v[18:19] op_sel_hi:[1,0,1] neg_lo:[1,0,0] neg_hi:[1,0,0]
	v_pk_mul_f32 v[106:107], v[104:105], s[2:3] op_sel_hi:[1,0]
	v_pk_add_f32 v[0:1], v[98:99], v[0:1]
	v_pk_fma_f32 v[98:99], v[96:97], s[2:3], v[90:91] op_sel:[0,0,1] op_sel_hi:[1,0,0]
	v_pk_add_f32 v[108:109], v[56:57], v[106:107] op_sel:[0,1] op_sel_hi:[1,0]
	v_pk_add_f32 v[56:57], v[56:57], v[106:107] op_sel:[0,1] op_sel_hi:[1,0] neg_lo:[0,1] neg_hi:[0,1]
	v_pk_add_f32 v[106:107], v[10:11], v[6:7] neg_lo:[0,1] neg_hi:[0,1]
	v_pk_add_f32 v[110:111], v[14:15], v[54:55] neg_lo:[0,1] neg_hi:[0,1]
	v_pk_fma_f32 v[98:99], v[44:45], s[6:7], v[98:99] op_sel_hi:[1,0,1]
	v_pk_add_f32 v[106:107], v[106:107], v[110:111]
	v_mov_b32_e32 v110, v99
	v_pk_fma_f32 v[110:111], v[42:43], s[0:1], v[110:111] op_sel_hi:[1,0,1]
	v_pk_mul_f32 v[112:113], v[42:43], s[0:1] op_sel_hi:[1,0]
	v_pk_fma_f32 v[42:43], v[96:97], s[2:3], v[90:91] op_sel:[0,0,1] op_sel_hi:[1,0,0] neg_lo:[1,0,0] neg_hi:[1,0,0]
	v_mov_b32_e32 v90, v113
	v_pk_fma_f32 v[42:43], v[44:45], s[6:7], v[42:43] op_sel_hi:[1,0,1] neg_lo:[1,0,0] neg_hi:[1,0,0]
	v_pk_mul_f32 v[66:67], v[66:67], s[2:3] op_sel_hi:[1,0]
	v_pk_add_f32 v[90:91], v[90:91], v[42:43]
	v_mov_b32_e32 v99, v43
	v_pk_mul_f32 v[42:43], v[44:45], s[2:3] op_sel_hi:[1,0]
	v_pk_mul_f32 v[64:65], v[64:65], s[6:7] op_sel_hi:[1,0]
	v_pk_add_f32 v[44:45], v[88:89], v[42:43] op_sel:[0,1] op_sel_hi:[1,0]
	v_pk_add_f32 v[42:43], v[88:89], v[42:43] op_sel:[0,1] op_sel_hi:[1,0] neg_lo:[0,1] neg_hi:[0,1]
	v_pk_mul_f32 v[88:89], v[96:97], s[6:7] op_sel_hi:[1,0]
	v_pk_mul_f32 v[72:73], v[72:73], s[2:3] op_sel_hi:[1,0]
	v_pk_add_f32 v[96:97], v[44:45], v[88:89] op_sel:[0,1] op_sel_hi:[1,0] neg_lo:[0,1] neg_hi:[0,1]
	v_pk_add_f32 v[88:89], v[42:43], v[88:89] op_sel:[0,1] op_sel_hi:[1,0]
	v_mov_b32_e32 v43, v97
	v_mov_b32_e32 v42, v88
	v_pk_fma_f32 v[42:43], v[0:1], s[0:1], v[42:43] op_sel_hi:[1,0,1]
	v_mov_b32_e32 v97, v89
	v_pk_mul_f32 v[44:45], v[42:43], s[2:3] op_sel_hi:[1,0]
	v_pk_fma_f32 v[0:1], v[0:1], s[0:1], v[96:97] op_sel_hi:[1,0,1]
	v_pk_fma_f32 v[114:115], v[42:43], s[0:1], v[44:45] op_sel:[0,0,1] op_sel_hi:[1,0,0] neg_lo:[0,0,1] neg_hi:[0,0,1]
	v_pk_fma_f32 v[42:43], v[42:43], s[0:1], v[44:45] op_sel:[0,0,1] op_sel_hi:[1,0,0]
	v_pk_add_f32 v[44:45], v[112:113], v[98:99] op_sel:[1,0] op_sel_hi:[0,1]
	v_pk_mul_f32 v[98:99], v[44:45], s[8:9] op_sel_hi:[1,0]
	s_mov_b32 s9, s6
	v_pk_fma_f32 v[98:99], v[44:45], s[6:7], v[98:99] op_sel:[0,0,1] op_sel_hi:[1,1,0] neg_lo:[0,0,1] neg_hi:[0,0,1]
	v_pk_mul_f32 v[44:45], v[50:51], s[6:7] op_sel_hi:[1,0]
	v_pk_mul_f32 v[70:71], v[70:71], s[6:7] op_sel_hi:[1,0]
	v_pk_add_f32 v[108:109], v[108:109], v[44:45] op_sel:[0,1] op_sel_hi:[1,0] neg_lo:[0,1] neg_hi:[0,1]
	v_pk_add_f32 v[50:51], v[56:57], v[44:45] op_sel:[0,1] op_sel_hi:[1,0]
	v_pk_mul_f32 v[44:45], v[110:111], s[8:9] op_sel_hi:[0,1]
	v_pk_fma_f32 v[56:57], v[90:91], s[10:11], v[44:45] op_sel_hi:[0,1,1] neg_lo:[0,0,1] neg_hi:[0,0,1]
	v_pk_fma_f32 v[44:45], v[90:91], s[10:11], v[44:45] op_sel_hi:[0,1,1]
	v_mov_b32_e32 v45, v57
	v_pk_mul_f32 v[56:57], v[104:105], s[6:7] op_sel_hi:[1,0]
	v_mov_b32_e32 v43, v115
	v_pk_add_f32 v[90:91], v[92:93], v[56:57] op_sel:[0,1] op_sel_hi:[1,0] neg_lo:[0,1] neg_hi:[0,1]
	v_pk_add_f32 v[48:49], v[48:49], v[56:57] op_sel:[0,1] op_sel_hi:[1,0]
	v_mov_b32_e32 v57, v91
	v_mov_b32_e32 v56, v48
	v_mov_b32_e32 v91, v49
	v_pk_fma_f32 v[56:57], v[46:47], s[0:1], v[56:57] op_sel_hi:[1,0,1]
	v_pk_fma_f32 v[90:91], v[46:47], s[0:1], v[90:91] op_sel_hi:[1,0,1]
	v_pk_mul_f32 v[46:47], v[0:1], s[0:1] op_sel_hi:[1,0]
	s_nop 0
	v_pk_fma_f32 v[46:47], v[0:1], s[14:15], v[46:47] op_sel:[0,0,1] op_sel_hi:[1,1,0] neg_lo:[0,0,1] neg_hi:[0,0,1]
	v_mov_b32_e32 v0, v50
	v_mov_b32_e32 v1, v109
	;; [unrolled: 1-line block ×3, first 2 shown]
	v_pk_fma_f32 v[50:51], v[106:107], s[0:1], v[0:1] op_sel_hi:[1,0,1]
	v_pk_fma_f32 v[0:1], v[100:101], 0.5, v[58:59] op_sel_hi:[1,0,1] neg_lo:[1,0,0] neg_hi:[1,0,0]
	v_pk_add_f32 v[58:59], v[94:95], v[102:103]
	v_pk_add_f32 v[88:89], v[0:1], v[66:67] op_sel:[0,1] op_sel_hi:[1,0]
	v_pk_add_f32 v[0:1], v[0:1], v[66:67] op_sel:[0,1] op_sel_hi:[1,0] neg_lo:[0,1] neg_hi:[0,1]
	v_pk_add_f32 v[66:67], v[28:29], v[32:33] neg_lo:[0,1] neg_hi:[0,1]
	v_pk_add_f32 v[0:1], v[0:1], v[64:65] op_sel:[0,1] op_sel_hi:[1,0] neg_lo:[0,1] neg_hi:[0,1]
	v_pk_add_f32 v[64:65], v[88:89], v[64:65] op_sel:[0,1] op_sel_hi:[1,0]
	v_pk_add_f32 v[88:89], v[24:25], v[20:21] neg_lo:[0,1] neg_hi:[0,1]
	v_pk_add_f32 v[28:29], v[36:37], v[28:29]
	v_pk_add_f32 v[66:67], v[66:67], v[88:89]
	v_mov_b32_e32 v88, v64
	v_mov_b32_e32 v89, v1
	v_mov_b32_e32 v1, v65
	v_pk_fma_f32 v[64:65], v[58:59], s[0:1], v[88:89] op_sel_hi:[1,0,1]
	v_pk_fma_f32 v[0:1], v[58:59], s[0:1], v[0:1] op_sel_hi:[1,0,1]
	v_pk_add_f32 v[58:59], v[32:33], v[20:21]
	v_pk_add_f32 v[28:29], v[28:29], v[32:33]
	v_pk_fma_f32 v[58:59], v[58:59], 0.5, v[36:37] op_sel_hi:[1,0,1] neg_lo:[1,0,0] neg_hi:[1,0,0]
	v_pk_add_f32 v[20:21], v[28:29], v[20:21]
	v_pk_add_f32 v[88:89], v[58:59], v[72:73] op_sel:[0,1] op_sel_hi:[1,0]
	v_pk_add_f32 v[58:59], v[58:59], v[72:73] op_sel:[0,1] op_sel_hi:[1,0] neg_lo:[0,1] neg_hi:[0,1]
	v_pk_add_f32 v[72:73], v[70:71], v[88:89] op_sel:[1,0] op_sel_hi:[0,1]
	v_pk_add_f32 v[58:59], v[58:59], v[70:71] op_sel:[0,1] op_sel_hi:[1,0] neg_lo:[0,1] neg_hi:[0,1]
	v_pk_add_f32 v[20:21], v[20:21], v[24:25]
	v_pk_fma_f32 v[70:71], v[66:67], s[0:1], v[58:59] op_sel_hi:[1,0,1]
	v_mov_b32_e32 v59, v73
	v_pk_fma_f32 v[58:59], v[66:67], s[0:1], v[58:59] op_sel_hi:[1,0,1]
	v_pk_fma_f32 v[72:73], v[66:67], s[0:1], v[72:73] op_sel_hi:[1,0,1]
	v_pk_mul_f32 v[66:67], v[58:59], s[8:9] op_sel_hi:[1,0]
	v_pk_add_f32 v[24:25], v[2:3], v[20:21]
	v_pk_fma_f32 v[58:59], v[58:59], s[12:13], v[66:67] op_sel:[0,0,1] op_sel_hi:[1,1,0] neg_lo:[0,0,1] neg_hi:[0,0,1]
	v_pk_mul_f32 v[66:67], v[72:73], s[8:9] op_sel_hi:[0,1]
	v_pk_fma_f32 v[72:73], v[70:71], s[10:11], v[66:67] op_sel:[1,0,0]
	v_pk_fma_f32 v[66:67], v[70:71], s[10:11], v[66:67] op_sel:[1,0,0] neg_lo:[0,0,1] neg_hi:[0,0,1]
	v_pk_add_f32 v[20:21], v[2:3], v[20:21] neg_lo:[0,1] neg_hi:[0,1]
	v_mov_b32_e32 v73, v67
	v_pk_add_f32 v[2:3], v[64:65], v[72:73]
	v_pk_add_f32 v[28:29], v[64:65], v[72:73] neg_lo:[0,1] neg_hi:[0,1]
	v_pk_add_f32 v[64:65], v[0:1], v[58:59] op_sel:[1,0] op_sel_hi:[0,1]
	v_pk_add_f32 v[58:59], v[0:1], v[58:59] op_sel:[1,0] op_sel_hi:[0,1] neg_lo:[0,1] neg_hi:[0,1]
	v_pk_add_f32 v[0:1], v[18:19], v[6:7]
	v_mov_b32_e32 v6, v65
	v_mov_b32_e32 v7, v64
	ds_write2_b64 v86, v[6:7], v[20:21] offset0:4 offset1:5
	v_pk_add_f32 v[6:7], v[16:17], v[4:5]
	v_pk_add_f32 v[32:33], v[76:77], v[68:69] neg_lo:[0,1] neg_hi:[0,1]
	v_pk_add_f32 v[6:7], v[6:7], v[8:9]
	v_pk_add_f32 v[36:37], v[78:79], v[74:75] op_sel:[0,1] op_sel_hi:[1,0] neg_lo:[0,1] neg_hi:[0,1]
	v_pk_add_f32 v[6:7], v[6:7], v[12:13]
	ds_write2_b64 v86, v[28:29], v[32:33] offset0:6 offset1:7
	v_pk_add_f32 v[18:19], v[6:7], v[52:53]
	v_mov_b32_e32 v6, v59
	v_mov_b32_e32 v7, v58
	ds_write2_b64 v86, v[36:37], v[6:7] offset0:8 offset1:9
	v_pk_add_f32 v[6:7], v[8:9], v[12:13]
	v_pk_add_f32 v[28:29], v[4:5], v[52:53] neg_lo:[0,1] neg_hi:[0,1]
	v_pk_add_f32 v[0:1], v[0:1], v[10:11]
	v_pk_fma_f32 v[6:7], v[6:7], 0.5, v[16:17] op_sel_hi:[1,0,1] neg_lo:[1,0,0] neg_hi:[1,0,0]
	v_pk_mul_f32 v[10:11], v[28:29], s[2:3] op_sel_hi:[1,0]
	v_pk_add_f32 v[32:33], v[8:9], v[12:13] neg_lo:[0,1] neg_hi:[0,1]
	v_pk_add_f32 v[20:21], v[4:5], v[52:53]
	ds_write2_b64 v86, v[24:25], v[2:3] offset1:1
	v_pk_fma_f32 v[36:37], v[20:21], 0.5, v[16:17] op_sel_hi:[1,0,1] neg_lo:[1,0,0] neg_hi:[1,0,0]
	v_pk_add_f32 v[16:17], v[4:5], v[8:9] neg_lo:[0,1] neg_hi:[0,1]
	v_pk_add_f32 v[20:21], v[52:53], v[12:13] neg_lo:[0,1] neg_hi:[0,1]
	v_pk_add_f32 v[24:25], v[6:7], v[10:11] op_sel:[0,1] op_sel_hi:[1,0]
	v_pk_add_f32 v[6:7], v[6:7], v[10:11] op_sel:[0,1] op_sel_hi:[1,0] neg_lo:[0,1] neg_hi:[0,1]
	v_pk_mul_f32 v[10:11], v[32:33], s[6:7] op_sel_hi:[1,0]
	v_pk_add_f32 v[0:1], v[0:1], v[14:15]
	v_pk_add_f32 v[16:17], v[16:17], v[20:21]
	v_pk_add_f32 v[20:21], v[6:7], v[10:11] op_sel:[0,1] op_sel_hi:[1,0] neg_lo:[0,1] neg_hi:[0,1]
	v_pk_add_f32 v[4:5], v[8:9], v[4:5] neg_lo:[0,1] neg_hi:[0,1]
	v_pk_add_f32 v[6:7], v[12:13], v[52:53] neg_lo:[0,1] neg_hi:[0,1]
	v_pk_add_f32 v[14:15], v[0:1], v[54:55]
	v_pk_add_f32 v[66:67], v[4:5], v[6:7]
	v_pk_add_f32 v[54:55], v[34:35], v[22:23] neg_lo:[0,1] neg_hi:[0,1]
	v_pk_add_f32 v[4:5], v[30:31], v[26:27]
	v_pk_add_f32 v[24:25], v[24:25], v[10:11] op_sel:[0,1] op_sel_hi:[1,0]
	v_pk_add_f32 v[58:59], v[30:31], v[26:27] neg_lo:[0,1] neg_hi:[0,1]
	v_pk_fma_f32 v[4:5], v[4:5], 0.5, v[38:39] op_sel_hi:[1,0,1] neg_lo:[1,0,0] neg_hi:[1,0,0]
	v_pk_mul_f32 v[6:7], v[54:55], s[2:3] op_sel_hi:[1,0]
	v_pk_add_f32 v[10:11], v[34:35], v[30:31] neg_lo:[0,1] neg_hi:[0,1]
	v_pk_add_f32 v[12:13], v[22:23], v[26:27] neg_lo:[0,1] neg_hi:[0,1]
	v_pk_mul_f32 v[8:9], v[58:59], s[6:7] op_sel_hi:[1,0]
	v_pk_add_f32 v[52:53], v[10:11], v[12:13]
	v_pk_add_f32 v[10:11], v[4:5], v[6:7] op_sel:[0,1] op_sel_hi:[1,0] neg_lo:[0,1] neg_hi:[0,1]
	v_pk_add_f32 v[4:5], v[4:5], v[6:7] op_sel:[0,1] op_sel_hi:[1,0]
	v_pk_add_f32 v[64:65], v[10:11], v[8:9] op_sel:[0,1] op_sel_hi:[1,0]
	v_pk_add_f32 v[68:69], v[4:5], v[8:9] op_sel:[0,1] op_sel_hi:[1,0] neg_lo:[0,1] neg_hi:[0,1]
	v_mov_b32_e32 v4, v64
	v_mov_b32_e32 v5, v69
	v_pk_fma_f32 v[4:5], v[52:53], s[0:1], v[4:5] op_sel_hi:[1,0,1]
	v_pk_mul_f32 v[28:29], v[28:29], s[6:7] op_sel_hi:[1,0]
	v_pk_mul_f32 v[6:7], v[4:5], s[2:3] op_sel_hi:[1,0]
	v_mov_b32_e32 v69, v65
	v_pk_fma_f32 v[12:13], v[4:5], s[0:1], v[6:7] op_sel:[0,0,1] op_sel_hi:[1,0,0]
	v_pk_fma_f32 v[4:5], v[4:5], s[0:1], v[6:7] op_sel:[0,0,1] op_sel_hi:[1,0,0] neg_lo:[0,0,1] neg_hi:[0,0,1]
	v_pk_fma_f32 v[48:49], v[106:107], s[0:1], v[108:109] op_sel_hi:[1,0,1]
	v_mov_b32_e32 v13, v5
	v_pk_mul_f32 v[4:5], v[32:33], s[2:3] op_sel_hi:[1,0]
	v_pk_add_f32 v[2:3], v[14:15], v[40:41] neg_lo:[0,1] neg_hi:[0,1]
	v_pk_add_f32 v[32:33], v[36:37], v[4:5] op_sel:[0,1] op_sel_hi:[1,0] neg_lo:[0,1] neg_hi:[0,1]
	v_pk_add_f32 v[36:37], v[36:37], v[4:5] op_sel:[0,1] op_sel_hi:[1,0]
	v_pk_add_f32 v[32:33], v[32:33], v[28:29] op_sel:[0,1] op_sel_hi:[1,0]
	v_pk_add_f32 v[70:71], v[36:37], v[28:29] op_sel:[0,1] op_sel_hi:[1,0] neg_lo:[0,1] neg_hi:[0,1]
	v_pk_add_f32 v[28:29], v[38:39], v[30:31]
	v_pk_add_f32 v[30:31], v[30:31], v[34:35] neg_lo:[0,1] neg_hi:[0,1]
	v_pk_add_f32 v[28:29], v[28:29], v[34:35]
	v_pk_add_f32 v[0:1], v[90:91], v[98:99]
	;; [unrolled: 1-line block ×3, first 2 shown]
	v_pk_add_f32 v[8:9], v[56:57], v[44:45] neg_lo:[0,1] neg_hi:[0,1]
	v_pk_add_f32 v[36:37], v[28:29], v[26:27]
	v_pk_fma_f32 v[28:29], v[52:53], s[0:1], v[68:69] op_sel_hi:[1,0,1]
	v_pk_add_f32 v[64:65], v[18:19], v[36:37]
	v_pk_mul_f32 v[52:53], v[28:29], s[0:1] op_sel_hi:[1,0]
	v_pk_add_f32 v[18:19], v[18:19], v[36:37] neg_lo:[0,1] neg_hi:[0,1]
	v_pk_fma_f32 v[28:29], v[28:29], s[14:15], v[52:53] op_sel:[0,0,1] op_sel_hi:[1,1,0] neg_lo:[0,0,1] neg_hi:[0,0,1]
	v_mov_b32_e32 v52, v32
	v_mov_b32_e32 v53, v71
	v_mov_b32_e32 v71, v33
	v_pk_fma_f32 v[52:53], v[66:67], s[0:1], v[52:53] op_sel_hi:[1,0,1]
	v_pk_fma_f32 v[32:33], v[66:67], s[0:1], v[70:71] op_sel_hi:[1,0,1]
	v_pk_add_f32 v[68:69], v[52:53], v[12:13]
	v_pk_add_f32 v[66:67], v[32:33], v[28:29] op_sel:[0,1] op_sel_hi:[1,0]
	ds_write2_b64 v86, v[68:69], v[66:67] offset0:162 offset1:163
	v_mov_b32_e32 v66, v24
	v_mov_b32_e32 v67, v21
	v_pk_add_f32 v[68:69], v[34:35], v[22:23]
	v_mov_b32_e32 v21, v25
	v_pk_fma_f32 v[66:67], v[16:17], s[0:1], v[66:67] op_sel_hi:[1,0,1]
	v_pk_fma_f32 v[38:39], v[68:69], 0.5, v[38:39] op_sel_hi:[1,0,1] neg_lo:[1,0,0] neg_hi:[1,0,0]
	v_pk_fma_f32 v[16:17], v[16:17], s[0:1], v[20:21] op_sel_hi:[1,0,1]
	v_pk_mul_f32 v[20:21], v[58:59], s[2:3] op_sel_hi:[1,0]
	v_pk_add_f32 v[22:23], v[26:27], v[22:23] neg_lo:[0,1] neg_hi:[0,1]
	v_pk_add_f32 v[24:25], v[38:39], v[20:21] op_sel:[0,1] op_sel_hi:[1,0]
	v_pk_mul_f32 v[26:27], v[54:55], s[6:7] op_sel_hi:[1,0]
	v_pk_add_f32 v[20:21], v[38:39], v[20:21] op_sel:[0,1] op_sel_hi:[1,0] neg_lo:[0,1] neg_hi:[0,1]
	v_pk_add_f32 v[22:23], v[30:31], v[22:23]
	v_pk_add_f32 v[24:25], v[26:27], v[24:25] op_sel:[1,0] op_sel_hi:[0,1]
	v_pk_add_f32 v[20:21], v[20:21], v[26:27] op_sel:[0,1] op_sel_hi:[1,0] neg_lo:[0,1] neg_hi:[0,1]
	v_pk_fma_f32 v[30:31], v[22:23], s[0:1], v[24:25] op_sel_hi:[1,0,1]
	v_pk_fma_f32 v[26:27], v[22:23], s[0:1], v[20:21] op_sel_hi:[1,0,1]
	v_mov_b32_e32 v21, v25
	v_pk_fma_f32 v[20:21], v[22:23], s[0:1], v[20:21] op_sel_hi:[1,0,1]
	v_pk_add_f32 v[12:13], v[52:53], v[12:13] neg_lo:[0,1] neg_hi:[0,1]
	v_pk_mul_f32 v[22:23], v[20:21], s[8:9] op_sel_hi:[1,0]
	v_pk_add_f32 v[10:11], v[50:51], v[42:43] neg_lo:[0,1] neg_hi:[0,1]
	v_pk_fma_f32 v[20:21], v[20:21], s[12:13], v[22:23] op_sel:[0,0,1] op_sel_hi:[1,1,0] neg_lo:[0,0,1] neg_hi:[0,0,1]
	v_pk_mul_f32 v[22:23], v[30:31], s[8:9] op_sel_hi:[0,1]
	v_pk_fma_f32 v[24:25], v[26:27], s[10:11], v[22:23] op_sel:[1,0,0]
	v_pk_fma_f32 v[22:23], v[26:27], s[10:11], v[22:23] op_sel:[1,0,0] neg_lo:[0,0,1] neg_hi:[0,0,1]
	v_pk_add_f32 v[26:27], v[16:17], v[20:21] op_sel:[1,0] op_sel_hi:[0,1]
	v_mov_b32_e32 v25, v23
	v_pk_add_f32 v[22:23], v[66:67], v[24:25]
	ds_write2_b64 v86, v[64:65], v[22:23] offset0:160 offset1:161
	v_mov_b32_e32 v22, v27
	v_mov_b32_e32 v23, v26
	ds_write2_b64 v86, v[22:23], v[18:19] offset0:164 offset1:165
	v_pk_add_f32 v[18:19], v[66:67], v[24:25] neg_lo:[0,1] neg_hi:[0,1]
	v_pk_add_f32 v[16:17], v[16:17], v[20:21] op_sel:[1,0] op_sel_hi:[0,1] neg_lo:[0,1] neg_hi:[0,1]
	ds_write2_b64 v86, v[18:19], v[12:13] offset0:166 offset1:167
	v_pk_add_f32 v[12:13], v[32:33], v[28:29] op_sel:[0,1] op_sel_hi:[1,0] neg_lo:[0,1] neg_hi:[0,1]
	v_mov_b32_e32 v18, v17
	v_mov_b32_e32 v19, v16
	ds_write2_b64 v86, v[12:13], v[18:19] offset0:168 offset1:169
	v_add_u32_e32 v16, 0xa00, v86
	v_pk_add_f32 v[12:13], v[14:15], v[40:41]
	v_pk_add_f32 v[14:15], v[56:57], v[44:45]
	ds_write2_b64 v16, v[12:13], v[14:15] offset1:1
	v_add_u32_e32 v16, 0xa10, v86
	v_pk_add_f32 v[12:13], v[50:51], v[42:43]
	v_pk_add_f32 v[14:15], v[48:49], v[46:47] op_sel:[0,1] op_sel_hi:[1,0]
	ds_write2_b64 v16, v[12:13], v[14:15] offset1:1
	v_add_u32_e32 v12, 0xa20, v86
	ds_write2_b64 v12, v[0:1], v[2:3] offset1:1
	v_add_u32_e32 v12, 0xa30, v86
	v_pk_add_f32 v[6:7], v[90:91], v[98:99] neg_lo:[0,1] neg_hi:[0,1]
	v_pk_add_f32 v[4:5], v[48:49], v[46:47] op_sel:[0,1] op_sel_hi:[1,0] neg_lo:[0,1] neg_hi:[0,1]
	ds_write2_b64 v12, v[8:9], v[10:11] offset1:1
	v_add_u32_e32 v12, 0xa40, v86
	ds_write2_b64 v12, v[4:5], v[6:7] offset1:1
	s_waitcnt lgkmcnt(0)
	; wave barrier
	s_waitcnt lgkmcnt(0)
	ds_read_b64 v[64:65], v81
	ds_read2_b64 v[56:59], v63 offset0:60 offset1:76
	ds_read2_b64 v[40:43], v63 offset0:92 offset1:120
	;; [unrolled: 1-line block ×6, first 2 shown]
	ds_read_b32 v68, v63 offset:3364
	ds_read_b64 v[66:67], v63 offset:3360
	ds_read2_b64 v[16:19], v63 offset0:16 offset1:32
	ds_read2_b64 v[44:47], v63 offset0:136 offset1:152
	ds_read2_b64 v[36:39], v85 offset1:16
	ds_read2_b64 v[24:27], v85 offset0:120 offset1:136
	ds_read2_b64 v[20:23], v85 offset0:180 offset1:196
	v_cmp_gt_u32_e64 s[0:1], 12, v62
                                        ; implicit-def: $vgpr12
	s_and_saveexec_b64 s[2:3], s[0:1]
	s_cbranch_execz .LBB0_19
; %bb.18:
	ds_read2_b64 v[0:3], v63 offset0:48 offset1:108
	ds_read2_b64 v[8:11], v63 offset0:168 offset1:228
	;; [unrolled: 1-line block ×4, first 2 shown]
.LBB0_19:
	s_or_b64 exec, exec, s[2:3]
	v_add_u32_e32 v69, -10, v62
	v_cmp_gt_u32_e64 s[2:3], 10, v62
	v_mov_b32_e32 v71, 0
	v_mov_b32_e32 v105, 3
	v_cndmask_b32_e64 v85, v69, v62, s[2:3]
	v_mul_i32_i24_e32 v70, 7, v85
	v_lshl_add_u64 v[102:103], v[70:71], 3, s[4:5]
	v_or_b32_e32 v70, 16, v62
	v_mul_lo_u16_e32 v71, 26, v70
	v_mov_b32_e32 v69, 10
	global_load_dwordx4 v[72:75], v[102:103], off
	v_mul_lo_u16_sdwa v76, v71, v69 dst_sel:DWORD dst_unused:UNUSED_PAD src0_sel:BYTE_1 src1_sel:DWORD
	v_sub_u16_e32 v104, v70, v76
	v_mul_lo_u16_e32 v70, 7, v104
	v_lshlrev_b32_sdwa v70, v105, v70 dst_sel:DWORD dst_unused:UNUSED_PAD src0_sel:DWORD src1_sel:BYTE_0
	global_load_dwordx4 v[76:79], v70, s[4:5]
	global_load_dwordx4 v[86:89], v70, s[4:5] offset:16
	global_load_dwordx4 v[90:93], v70, s[4:5] offset:32
	global_load_dwordx2 v[114:115], v70, s[4:5] offset:48
	global_load_dwordx4 v[94:97], v[102:103], off offset:16
	global_load_dwordx4 v[98:101], v[102:103], off offset:32
	global_load_dwordx2 v[116:117], v[102:103], off offset:48
	v_or_b32_e32 v106, 32, v62
	v_mul_lo_u16_e32 v127, 26, v106
	v_mul_lo_u16_sdwa v108, v127, v69 dst_sel:DWORD dst_unused:UNUSED_PAD src0_sel:BYTE_1 src1_sel:DWORD
	v_mov_b32_e32 v70, 7
	s_movk_i32 s8, 0x50
	v_sub_u16_e32 v132, v106, v108
	v_mov_b32_e32 v107, 0x50
	v_cmp_lt_u32_e64 s[2:3], 9, v62
	v_mul_lo_u16_sdwa v71, v71, s8 dst_sel:DWORD dst_unused:UNUSED_PAD src0_sel:BYTE_1 src1_sel:DWORD
	v_mul_u32_u24_sdwa v102, v132, v70 dst_sel:DWORD dst_unused:UNUSED_PAD src0_sel:BYTE_0 src1_sel:DWORD
	v_cndmask_b32_e64 v107, 0, v107, s[2:3]
	v_or_b32_e32 v71, v71, v104
	v_lshlrev_b32_e32 v120, 3, v102
	v_or_b32_e32 v85, v107, v85
	v_lshlrev_b32_sdwa v71, v105, v71 dst_sel:DWORD dst_unused:UNUSED_PAD src0_sel:DWORD src1_sel:BYTE_0
	global_load_dwordx2 v[118:119], v120, s[4:5] offset:48
	global_load_dwordx4 v[102:105], v120, s[4:5] offset:32
	global_load_dwordx4 v[106:109], v120, s[4:5] offset:16
	global_load_dwordx4 v[110:113], v120, s[4:5]
	s_mov_b32 s2, 0x3f3504f3
	v_lshlrev_b32_e32 v85, 3, v85
	v_add3_u32 v85, 0, v85, v83
	s_waitcnt lgkmcnt(0)
	; wave barrier
	s_waitcnt lgkmcnt(0)
	v_add3_u32 v71, 0, v71, v83
	s_waitcnt vmcnt(11)
	v_pk_mul_f32 v[120:121], v[72:73], v[56:57] op_sel:[0,1]
	v_pk_mul_f32 v[122:123], v[74:75], v[42:43] op_sel:[0,1]
	v_pk_fma_f32 v[124:125], v[72:73], v[56:57], v[120:121] op_sel:[0,0,1] op_sel_hi:[1,1,0] neg_lo:[0,0,1] neg_hi:[0,0,1]
	v_pk_fma_f32 v[56:57], v[72:73], v[56:57], v[120:121] op_sel:[0,0,1] op_sel_hi:[1,0,0]
	v_pk_fma_f32 v[72:73], v[74:75], v[42:43], v[122:123] op_sel:[0,0,1] op_sel_hi:[1,1,0] neg_lo:[0,0,1] neg_hi:[0,0,1]
	v_pk_fma_f32 v[42:43], v[74:75], v[42:43], v[122:123] op_sel:[0,0,1] op_sel_hi:[1,0,0]
	s_waitcnt vmcnt(10)
	v_pk_mul_f32 v[74:75], v[76:77], v[58:59] op_sel:[0,1]
	v_mov_b32_e32 v42, v79
	s_waitcnt vmcnt(9)
	v_pk_mul_f32 v[120:121], v[54:55], v[86:87] op_sel:[0,1]
	s_waitcnt vmcnt(8)
	v_pk_mul_f32 v[122:123], v[50:51], v[90:91] op_sel:[0,1]
	v_mov_b32_e32 v126, v93
	v_pk_fma_f32 v[130:131], v[76:77], v[58:59], v[74:75] op_sel:[0,0,1] op_sel_hi:[1,1,0] neg_lo:[0,0,1] neg_hi:[0,0,1]
	v_pk_fma_f32 v[58:59], v[76:77], v[58:59], v[74:75] op_sel:[0,0,1] op_sel_hi:[1,0,0]
	v_pk_mul_f32 v[74:75], v[44:45], v[42:43] op_sel_hi:[1,0]
	v_pk_fma_f32 v[76:77], v[54:55], v[86:87], v[120:121] op_sel:[0,0,1] op_sel_hi:[1,1,0] neg_lo:[0,0,1] neg_hi:[0,0,1]
	v_pk_fma_f32 v[54:55], v[54:55], v[86:87], v[120:121] op_sel:[0,0,1] op_sel_hi:[1,0,0]
	v_pk_fma_f32 v[86:87], v[50:51], v[90:91], v[122:123] op_sel:[0,0,1] op_sel_hi:[1,1,0] neg_lo:[0,0,1] neg_hi:[0,0,1]
	v_pk_fma_f32 v[50:51], v[50:51], v[90:91], v[122:123] op_sel:[0,0,1] op_sel_hi:[1,0,0]
	v_pk_mul_f32 v[90:91], v[24:25], v[126:127] op_sel_hi:[1,0]
	v_mov_b32_e32 v131, v59
	v_pk_fma_f32 v[58:59], v[44:45], v[78:79], v[74:75] op_sel:[0,0,1] op_sel_hi:[1,1,0] neg_lo:[0,0,1] neg_hi:[0,0,1]
	v_pk_fma_f32 v[44:45], v[44:45], v[78:79], v[74:75] op_sel:[0,0,1] op_sel_hi:[1,0,0]
	v_mov_b32_e32 v87, v51
	v_pk_fma_f32 v[50:51], v[24:25], v[92:93], v[90:91] op_sel:[0,0,1] op_sel_hi:[1,1,0] neg_lo:[0,0,1] neg_hi:[0,0,1]
	v_pk_fma_f32 v[24:25], v[24:25], v[92:93], v[90:91] op_sel:[0,0,1] op_sel_hi:[1,0,0]
	v_mov_b32_e32 v56, v89
	v_mov_b32_e32 v59, v45
	;; [unrolled: 1-line block ×4, first 2 shown]
	v_pk_mul_f32 v[56:57], v[36:37], v[56:57] op_sel_hi:[1,0]
	v_pk_add_f32 v[44:45], v[58:59], v[50:51] neg_lo:[0,1] neg_hi:[0,1]
	v_mov_b32_e32 v73, v43
	s_waitcnt vmcnt(6)
	v_pk_mul_f32 v[42:43], v[94:95], v[52:53] op_sel:[0,1]
	v_mov_b32_e32 v77, v55
	v_pk_fma_f32 v[54:55], v[36:37], v[88:89], v[56:57] op_sel:[0,0,1] op_sel_hi:[1,1,0] neg_lo:[0,0,1] neg_hi:[0,0,1]
	v_pk_fma_f32 v[36:37], v[36:37], v[88:89], v[56:57] op_sel:[0,0,1] op_sel_hi:[1,0,0]
	v_pk_fma_f32 v[56:57], v[58:59], 2.0, v[44:45] op_sel_hi:[1,0,1] neg_lo:[0,0,1] neg_hi:[0,0,1]
	v_pk_fma_f32 v[58:59], v[94:95], v[52:53], v[42:43] op_sel:[0,0,1] op_sel_hi:[1,1,0] neg_lo:[0,0,1] neg_hi:[0,0,1]
	v_pk_fma_f32 v[42:43], v[94:95], v[52:53], v[42:43] op_sel:[0,0,1] op_sel_hi:[1,0,0]
	v_pk_mul_f32 v[128:129], v[20:21], v[114:115] op_sel:[0,1]
	v_mov_b32_e32 v59, v43
	v_pk_mul_f32 v[42:43], v[96:97], v[34:35] op_sel:[0,1]
	v_mov_b32_e32 v55, v37
	v_pk_fma_f32 v[52:53], v[96:97], v[34:35], v[42:43] op_sel:[0,0,1] op_sel_hi:[1,1,0] neg_lo:[0,0,1] neg_hi:[0,0,1]
	v_pk_fma_f32 v[34:35], v[96:97], v[34:35], v[42:43] op_sel:[0,0,1] op_sel_hi:[1,0,0]
	v_pk_fma_f32 v[120:121], v[20:21], v[114:115], v[128:129] op_sel:[0,0,1] op_sel_hi:[1,1,0] neg_lo:[0,0,1] neg_hi:[0,0,1]
	v_mov_b32_e32 v53, v35
	s_waitcnt vmcnt(5)
	v_pk_mul_f32 v[34:35], v[98:99], v[48:49] op_sel:[0,1]
	v_pk_fma_f32 v[20:21], v[20:21], v[114:115], v[128:129] op_sel:[0,0,1] op_sel_hi:[1,0,0]
	v_pk_fma_f32 v[42:43], v[98:99], v[48:49], v[34:35] op_sel:[0,0,1] op_sel_hi:[1,1,0] neg_lo:[0,0,1] neg_hi:[0,0,1]
	v_pk_fma_f32 v[34:35], v[98:99], v[48:49], v[34:35] op_sel:[0,0,1] op_sel_hi:[1,0,0]
	v_pk_add_f32 v[36:37], v[16:17], v[54:55] neg_lo:[0,1] neg_hi:[0,1]
	v_mov_b32_e32 v43, v35
	v_pk_mul_f32 v[34:35], v[100:101], v[30:31] op_sel:[0,1]
	v_pk_add_f32 v[42:43], v[124:125], v[42:43] neg_lo:[0,1] neg_hi:[0,1]
	v_pk_fma_f32 v[48:49], v[100:101], v[30:31], v[34:35] op_sel:[0,0,1] op_sel_hi:[1,1,0] neg_lo:[0,0,1] neg_hi:[0,0,1]
	v_pk_fma_f32 v[30:31], v[100:101], v[30:31], v[34:35] op_sel:[0,0,1] op_sel_hi:[1,0,0]
	v_mov_b32_e32 v121, v21
	v_mov_b32_e32 v49, v31
	s_waitcnt vmcnt(4)
	v_pk_mul_f32 v[30:31], v[68:69], v[116:117] op_sel_hi:[0,1]
	v_pk_fma_f32 v[34:35], v[116:117], v[66:67], v[30:31] op_sel:[0,0,1] op_sel_hi:[1,1,0] neg_lo:[0,0,1] neg_hi:[0,0,1]
	v_pk_fma_f32 v[30:31], v[116:117], v[66:67], v[30:31] op_sel:[0,0,1] op_sel_hi:[1,0,0]
	v_pk_add_f32 v[48:49], v[72:73], v[48:49] neg_lo:[0,1] neg_hi:[0,1]
	v_mov_b32_e32 v35, v31
	v_pk_add_f32 v[30:31], v[64:65], v[52:53] neg_lo:[0,1] neg_hi:[0,1]
	v_pk_add_f32 v[34:35], v[58:59], v[34:35] neg_lo:[0,1] neg_hi:[0,1]
	v_pk_fma_f32 v[52:53], v[64:65], 2.0, v[30:31] op_sel_hi:[1,0,1] neg_lo:[0,0,1] neg_hi:[0,0,1]
	v_pk_fma_f32 v[64:65], v[72:73], 2.0, v[48:49] op_sel_hi:[1,0,1] neg_lo:[0,0,1] neg_hi:[0,0,1]
	v_pk_add_f32 v[72:73], v[30:31], v[48:49] op_sel:[0,1] op_sel_hi:[1,0] neg_lo:[0,1] neg_hi:[0,1]
	v_pk_add_f32 v[48:49], v[30:31], v[48:49] op_sel:[0,1] op_sel_hi:[1,0]
	v_pk_fma_f32 v[58:59], v[58:59], 2.0, v[34:35] op_sel_hi:[1,0,1] neg_lo:[0,0,1] neg_hi:[0,0,1]
	v_mov_b32_e32 v73, v49
	v_pk_add_f32 v[48:49], v[42:43], v[34:35] op_sel:[0,1] op_sel_hi:[1,0] neg_lo:[0,1] neg_hi:[0,1]
	v_pk_add_f32 v[34:35], v[42:43], v[34:35] op_sel:[0,1] op_sel_hi:[1,0]
	v_pk_fma_f32 v[66:67], v[124:125], 2.0, v[42:43] op_sel_hi:[1,0,1] neg_lo:[0,0,1] neg_hi:[0,0,1]
	v_mov_b32_e32 v49, v35
	v_pk_fma_f32 v[30:31], v[30:31], 2.0, v[72:73] op_sel_hi:[1,0,1] neg_lo:[0,0,1] neg_hi:[0,0,1]
	v_pk_fma_f32 v[34:35], v[42:43], 2.0, v[48:49] op_sel_hi:[1,0,1] neg_lo:[0,0,1] neg_hi:[0,0,1]
	v_pk_add_f32 v[64:65], v[52:53], v[64:65] neg_lo:[0,1] neg_hi:[0,1]
	v_pk_add_f32 v[58:59], v[66:67], v[58:59] neg_lo:[0,1] neg_hi:[0,1]
	v_pk_mul_f32 v[42:43], v[34:35], s[2:3] op_sel_hi:[1,0]
	v_pk_fma_f32 v[34:35], v[34:35], s[2:3], v[30:31] op_sel_hi:[1,0,1] neg_lo:[1,0,0] neg_hi:[1,0,0]
	v_pk_fma_f32 v[52:53], v[52:53], 2.0, v[64:65] op_sel_hi:[1,0,1] neg_lo:[0,0,1] neg_hi:[0,0,1]
	v_pk_fma_f32 v[66:67], v[66:67], 2.0, v[58:59] op_sel_hi:[1,0,1] neg_lo:[0,0,1] neg_hi:[0,0,1]
	v_pk_add_f32 v[74:75], v[34:35], v[42:43] op_sel:[0,1] op_sel_hi:[1,0] neg_lo:[0,1] neg_hi:[0,1]
	v_pk_add_f32 v[34:35], v[34:35], v[42:43] op_sel:[0,1] op_sel_hi:[1,0]
	v_pk_add_f32 v[66:67], v[52:53], v[66:67] neg_lo:[0,1] neg_hi:[0,1]
	v_mov_b32_e32 v75, v35
	v_pk_fma_f32 v[52:53], v[52:53], 2.0, v[66:67] op_sel_hi:[1,0,1] neg_lo:[0,0,1] neg_hi:[0,0,1]
	v_pk_fma_f32 v[30:31], v[30:31], 2.0, v[74:75] op_sel_hi:[1,0,1] neg_lo:[0,0,1] neg_hi:[0,0,1]
	v_pk_mul_f32 v[42:43], v[48:49], s[2:3] op_sel_hi:[1,0]
	v_pk_fma_f32 v[48:49], v[48:49], s[2:3], v[72:73] op_sel_hi:[1,0,1]
	ds_write2_b64 v85, v[52:53], v[30:31] offset1:10
	v_pk_add_f32 v[30:31], v[64:65], v[58:59] op_sel:[0,1] op_sel_hi:[1,0] neg_lo:[0,1] neg_hi:[0,1]
	v_pk_add_f32 v[34:35], v[64:65], v[58:59] op_sel:[0,1] op_sel_hi:[1,0]
	v_pk_add_f32 v[52:53], v[48:49], v[42:43] op_sel:[0,1] op_sel_hi:[1,0] neg_lo:[0,1] neg_hi:[0,1]
	v_pk_add_f32 v[42:43], v[48:49], v[42:43] op_sel:[0,1] op_sel_hi:[1,0]
	v_mov_b32_e32 v31, v35
	v_mov_b32_e32 v53, v43
	v_pk_fma_f32 v[34:35], v[64:65], 2.0, v[30:31] op_sel_hi:[1,0,1] neg_lo:[0,0,1] neg_hi:[0,0,1]
	v_pk_fma_f32 v[42:43], v[72:73], 2.0, v[52:53] op_sel_hi:[1,0,1] neg_lo:[0,0,1] neg_hi:[0,0,1]
	ds_write2_b64 v85, v[34:35], v[42:43] offset0:20 offset1:30
	ds_write2_b64 v85, v[66:67], v[74:75] offset0:40 offset1:50
	;; [unrolled: 1-line block ×3, first 2 shown]
	v_pk_add_f32 v[30:31], v[36:37], v[44:45] op_sel:[0,1] op_sel_hi:[1,0] neg_lo:[0,1] neg_hi:[0,1]
	v_pk_add_f32 v[34:35], v[36:37], v[44:45] op_sel:[0,1] op_sel_hi:[1,0]
	v_pk_add_f32 v[20:21], v[130:131], v[86:87] neg_lo:[0,1] neg_hi:[0,1]
	v_pk_add_f32 v[24:25], v[76:77], v[120:121] neg_lo:[0,1] neg_hi:[0,1]
	v_mov_b32_e32 v31, v35
	v_pk_fma_f32 v[54:55], v[76:77], 2.0, v[24:25] op_sel_hi:[1,0,1] neg_lo:[0,0,1] neg_hi:[0,0,1]
	v_pk_fma_f32 v[16:17], v[16:17], 2.0, v[36:37] op_sel_hi:[1,0,1] neg_lo:[0,0,1] neg_hi:[0,0,1]
	;; [unrolled: 1-line block ×3, first 2 shown]
	v_pk_add_f32 v[36:37], v[20:21], v[24:25] op_sel:[0,1] op_sel_hi:[1,0] neg_lo:[0,1] neg_hi:[0,1]
	v_pk_add_f32 v[24:25], v[20:21], v[24:25] op_sel:[0,1] op_sel_hi:[1,0]
	v_pk_fma_f32 v[50:51], v[130:131], 2.0, v[20:21] op_sel_hi:[1,0,1] neg_lo:[0,0,1] neg_hi:[0,0,1]
	v_mov_b32_e32 v37, v25
	v_pk_fma_f32 v[20:21], v[20:21], 2.0, v[36:37] op_sel_hi:[1,0,1] neg_lo:[0,0,1] neg_hi:[0,0,1]
	v_pk_add_f32 v[54:55], v[50:51], v[54:55] neg_lo:[0,1] neg_hi:[0,1]
	v_pk_add_f32 v[56:57], v[16:17], v[56:57] neg_lo:[0,1] neg_hi:[0,1]
	v_pk_mul_f32 v[24:25], v[20:21], s[2:3] op_sel_hi:[1,0]
	v_pk_fma_f32 v[20:21], v[20:21], s[2:3], v[34:35] op_sel_hi:[1,0,1] neg_lo:[1,0,0] neg_hi:[1,0,0]
	v_pk_fma_f32 v[50:51], v[50:51], 2.0, v[54:55] op_sel_hi:[1,0,1] neg_lo:[0,0,1] neg_hi:[0,0,1]
	v_pk_fma_f32 v[16:17], v[16:17], 2.0, v[56:57] op_sel_hi:[1,0,1] neg_lo:[0,0,1] neg_hi:[0,0,1]
	v_pk_add_f32 v[42:43], v[20:21], v[24:25] op_sel:[0,1] op_sel_hi:[1,0] neg_lo:[0,1] neg_hi:[0,1]
	v_pk_add_f32 v[20:21], v[20:21], v[24:25] op_sel:[0,1] op_sel_hi:[1,0]
	v_pk_add_f32 v[50:51], v[16:17], v[50:51] neg_lo:[0,1] neg_hi:[0,1]
	v_mov_b32_e32 v43, v21
	v_pk_fma_f32 v[16:17], v[16:17], 2.0, v[50:51] op_sel_hi:[1,0,1] neg_lo:[0,0,1] neg_hi:[0,0,1]
	v_pk_fma_f32 v[20:21], v[34:35], 2.0, v[42:43] op_sel_hi:[1,0,1] neg_lo:[0,0,1] neg_hi:[0,0,1]
	v_pk_mul_f32 v[24:25], v[36:37], s[2:3] op_sel_hi:[1,0]
	v_pk_fma_f32 v[34:35], v[36:37], s[2:3], v[30:31] op_sel_hi:[1,0,1]
	ds_write2_b64 v71, v[16:17], v[20:21] offset1:10
	v_pk_add_f32 v[16:17], v[56:57], v[54:55] op_sel:[0,1] op_sel_hi:[1,0] neg_lo:[0,1] neg_hi:[0,1]
	v_pk_add_f32 v[20:21], v[56:57], v[54:55] op_sel:[0,1] op_sel_hi:[1,0]
	v_pk_add_f32 v[36:37], v[34:35], v[24:25] op_sel:[0,1] op_sel_hi:[1,0] neg_lo:[0,1] neg_hi:[0,1]
	v_pk_add_f32 v[24:25], v[34:35], v[24:25] op_sel:[0,1] op_sel_hi:[1,0]
	v_mov_b32_e32 v17, v21
	v_mov_b32_e32 v37, v25
	v_pk_fma_f32 v[20:21], v[56:57], 2.0, v[16:17] op_sel_hi:[1,0,1] neg_lo:[0,0,1] neg_hi:[0,0,1]
	v_pk_fma_f32 v[24:25], v[30:31], 2.0, v[36:37] op_sel_hi:[1,0,1] neg_lo:[0,0,1] neg_hi:[0,0,1]
	ds_write2_b64 v71, v[20:21], v[24:25] offset0:20 offset1:30
	ds_write2_b64 v71, v[50:51], v[42:43] offset0:40 offset1:50
	ds_write2_b64 v71, v[16:17], v[36:37] offset0:60 offset1:70
	v_mul_u32_u24_sdwa v16, v127, s8 dst_sel:DWORD dst_unused:UNUSED_PAD src0_sel:BYTE_1 src1_sel:DWORD
	v_or_b32_sdwa v16, v16, v132 dst_sel:DWORD dst_unused:UNUSED_PAD src0_sel:DWORD src1_sel:BYTE_0
	v_lshlrev_b32_e32 v16, 3, v16
	v_add3_u32 v36, 0, v16, v83
	s_waitcnt vmcnt(0)
	v_pk_mul_f32 v[16:17], v[40:41], v[110:111] op_sel:[0,1]
	s_nop 0
	v_pk_fma_f32 v[20:21], v[40:41], v[110:111], v[16:17] op_sel:[0,0,1] op_sel_hi:[1,1,0] neg_lo:[0,0,1] neg_hi:[0,0,1]
	v_pk_fma_f32 v[16:17], v[40:41], v[110:111], v[16:17] op_sel:[0,0,1] op_sel_hi:[1,0,0]
	s_nop 0
	v_mov_b32_e32 v16, v113
	v_mov_b32_e32 v21, v17
	v_pk_mul_f32 v[16:17], v[46:47], v[16:17] op_sel_hi:[1,0]
	s_nop 0
	v_pk_fma_f32 v[24:25], v[46:47], v[112:113], v[16:17] op_sel:[0,0,1] op_sel_hi:[1,1,0] neg_lo:[0,0,1] neg_hi:[0,0,1]
	v_pk_fma_f32 v[16:17], v[46:47], v[112:113], v[16:17] op_sel:[0,0,1] op_sel_hi:[1,0,0]
	s_nop 0
	v_mov_b32_e32 v25, v17
	v_pk_mul_f32 v[16:17], v[32:33], v[106:107] op_sel:[0,1]
	s_nop 0
	v_pk_fma_f32 v[30:31], v[32:33], v[106:107], v[16:17] op_sel:[0,0,1] op_sel_hi:[1,1,0] neg_lo:[0,0,1] neg_hi:[0,0,1]
	v_pk_fma_f32 v[16:17], v[32:33], v[106:107], v[16:17] op_sel:[0,0,1] op_sel_hi:[1,0,0]
	s_nop 0
	v_mov_b32_e32 v16, v109
	v_mov_b32_e32 v31, v17
	v_pk_mul_f32 v[16:17], v[38:39], v[16:17] op_sel_hi:[1,0]
	s_nop 0
	v_pk_fma_f32 v[32:33], v[38:39], v[108:109], v[16:17] op_sel:[0,0,1] op_sel_hi:[1,1,0] neg_lo:[0,0,1] neg_hi:[0,0,1]
	v_pk_fma_f32 v[16:17], v[38:39], v[108:109], v[16:17] op_sel:[0,0,1] op_sel_hi:[1,0,0]
	s_nop 0
	v_mov_b32_e32 v33, v17
	;; [unrolled: 13-line block ×3, first 2 shown]
	v_pk_mul_f32 v[16:17], v[22:23], v[118:119] op_sel:[0,1]
	s_nop 0
	v_pk_fma_f32 v[26:27], v[22:23], v[118:119], v[16:17] op_sel:[0,0,1] op_sel_hi:[1,1,0] neg_lo:[0,0,1] neg_hi:[0,0,1]
	v_pk_fma_f32 v[16:17], v[22:23], v[118:119], v[16:17] op_sel:[0,0,1] op_sel_hi:[1,0,0]
	v_pk_add_f32 v[22:23], v[24:25], v[28:29] neg_lo:[0,1] neg_hi:[0,1]
	v_mov_b32_e32 v27, v17
	v_pk_add_f32 v[16:17], v[18:19], v[32:33] neg_lo:[0,1] neg_hi:[0,1]
	v_pk_fma_f32 v[24:25], v[24:25], 2.0, v[22:23] op_sel_hi:[1,0,1] neg_lo:[0,0,1] neg_hi:[0,0,1]
	v_pk_add_f32 v[28:29], v[20:21], v[34:35] neg_lo:[0,1] neg_hi:[0,1]
	v_pk_add_f32 v[26:27], v[30:31], v[26:27] neg_lo:[0,1] neg_hi:[0,1]
	v_pk_add_f32 v[32:33], v[16:17], v[22:23] op_sel:[0,1] op_sel_hi:[1,0] neg_lo:[0,1] neg_hi:[0,1]
	v_pk_add_f32 v[22:23], v[16:17], v[22:23] op_sel:[0,1] op_sel_hi:[1,0]
	v_pk_fma_f32 v[30:31], v[30:31], 2.0, v[26:27] op_sel_hi:[1,0,1] neg_lo:[0,0,1] neg_hi:[0,0,1]
	v_mov_b32_e32 v33, v23
	v_pk_add_f32 v[22:23], v[28:29], v[26:27] op_sel:[0,1] op_sel_hi:[1,0] neg_lo:[0,1] neg_hi:[0,1]
	v_pk_add_f32 v[26:27], v[28:29], v[26:27] op_sel:[0,1] op_sel_hi:[1,0]
	v_pk_fma_f32 v[18:19], v[18:19], 2.0, v[16:17] op_sel_hi:[1,0,1] neg_lo:[0,0,1] neg_hi:[0,0,1]
	v_mov_b32_e32 v23, v27
	v_pk_fma_f32 v[20:21], v[20:21], 2.0, v[28:29] op_sel_hi:[1,0,1] neg_lo:[0,0,1] neg_hi:[0,0,1]
	v_pk_fma_f32 v[16:17], v[16:17], 2.0, v[32:33] op_sel_hi:[1,0,1] neg_lo:[0,0,1] neg_hi:[0,0,1]
	;; [unrolled: 1-line block ×3, first 2 shown]
	v_pk_add_f32 v[24:25], v[18:19], v[24:25] neg_lo:[0,1] neg_hi:[0,1]
	v_pk_add_f32 v[30:31], v[20:21], v[30:31] neg_lo:[0,1] neg_hi:[0,1]
	v_pk_mul_f32 v[28:29], v[26:27], s[2:3] op_sel_hi:[1,0]
	v_pk_fma_f32 v[26:27], v[26:27], s[2:3], v[16:17] op_sel_hi:[1,0,1] neg_lo:[1,0,0] neg_hi:[1,0,0]
	v_pk_fma_f32 v[18:19], v[18:19], 2.0, v[24:25] op_sel_hi:[1,0,1] neg_lo:[0,0,1] neg_hi:[0,0,1]
	v_pk_fma_f32 v[20:21], v[20:21], 2.0, v[30:31] op_sel_hi:[1,0,1] neg_lo:[0,0,1] neg_hi:[0,0,1]
	v_pk_add_f32 v[34:35], v[26:27], v[28:29] op_sel:[0,1] op_sel_hi:[1,0] neg_lo:[0,1] neg_hi:[0,1]
	v_pk_add_f32 v[26:27], v[26:27], v[28:29] op_sel:[0,1] op_sel_hi:[1,0]
	v_pk_add_f32 v[20:21], v[18:19], v[20:21] neg_lo:[0,1] neg_hi:[0,1]
	v_mov_b32_e32 v35, v27
	v_pk_fma_f32 v[18:19], v[18:19], 2.0, v[20:21] op_sel_hi:[1,0,1] neg_lo:[0,0,1] neg_hi:[0,0,1]
	v_pk_fma_f32 v[16:17], v[16:17], 2.0, v[34:35] op_sel_hi:[1,0,1] neg_lo:[0,0,1] neg_hi:[0,0,1]
	ds_write2_b64 v36, v[18:19], v[16:17] offset1:10
	v_pk_add_f32 v[16:17], v[24:25], v[30:31] op_sel:[0,1] op_sel_hi:[1,0] neg_lo:[0,1] neg_hi:[0,1]
	v_pk_add_f32 v[18:19], v[24:25], v[30:31] op_sel:[0,1] op_sel_hi:[1,0]
	s_nop 0
	v_mov_b32_e32 v17, v19
	v_pk_fma_f32 v[18:19], v[24:25], 2.0, v[16:17] op_sel_hi:[1,0,1] neg_lo:[0,0,1] neg_hi:[0,0,1]
	v_pk_mul_f32 v[24:25], v[22:23], s[2:3] op_sel_hi:[1,0]
	v_pk_fma_f32 v[22:23], v[22:23], s[2:3], v[32:33] op_sel_hi:[1,0,1]
	s_nop 0
	v_pk_add_f32 v[26:27], v[22:23], v[24:25] op_sel:[0,1] op_sel_hi:[1,0] neg_lo:[0,1] neg_hi:[0,1]
	v_pk_add_f32 v[22:23], v[22:23], v[24:25] op_sel:[0,1] op_sel_hi:[1,0]
	s_nop 0
	v_mov_b32_e32 v27, v23
	v_pk_fma_f32 v[22:23], v[32:33], 2.0, v[26:27] op_sel_hi:[1,0,1] neg_lo:[0,0,1] neg_hi:[0,0,1]
	ds_write2_b64 v36, v[18:19], v[22:23] offset0:20 offset1:30
	ds_write2_b64 v36, v[20:21], v[34:35] offset0:40 offset1:50
	;; [unrolled: 1-line block ×3, first 2 shown]
	s_and_saveexec_b64 s[6:7], s[0:1]
	s_cbranch_execz .LBB0_21
; %bb.20:
	v_or_b32_e32 v16, 48, v62
	v_mul_lo_u16_e32 v31, 26, v16
	v_mul_lo_u16_sdwa v17, v31, v69 dst_sel:DWORD dst_unused:UNUSED_PAD src0_sel:BYTE_1 src1_sel:DWORD
	v_sub_u16_e32 v33, v16, v17
	v_mul_u32_u24_sdwa v16, v33, v70 dst_sel:DWORD dst_unused:UNUSED_PAD src0_sel:BYTE_0 src1_sel:DWORD
	v_lshlrev_b32_e32 v30, 3, v16
	global_load_dwordx4 v[16:19], v30, s[4:5]
	global_load_dwordx4 v[20:23], v30, s[4:5] offset:32
	global_load_dwordx4 v[24:27], v30, s[4:5] offset:16
	global_load_dwordx2 v[28:29], v30, s[4:5] offset:48
	v_mov_b32_e32 v30, v13
	v_mul_u32_u24_sdwa v13, v31, s8 dst_sel:DWORD dst_unused:UNUSED_PAD src0_sel:BYTE_1 src1_sel:DWORD
	v_mov_b32_e32 v32, v15
	v_or_b32_sdwa v13, v13, v33 dst_sel:DWORD dst_unused:UNUSED_PAD src0_sel:DWORD src1_sel:BYTE_0
	v_lshlrev_b32_e32 v13, 3, v13
	v_add3_u32 v46, 0, v13, v83
	s_waitcnt vmcnt(3)
	v_pk_mul_f32 v[34:35], v[8:9], v[18:19] op_sel:[1,0]
	s_waitcnt vmcnt(2)
	v_pk_mul_f32 v[30:31], v[30:31], v[22:23] op_sel_hi:[0,1]
	s_waitcnt vmcnt(1)
	v_pk_mul_f32 v[36:37], v[4:5], v[26:27] op_sel:[1,0]
	v_pk_mul_f32 v[38:39], v[2:3], v[16:17] op_sel:[1,0]
	;; [unrolled: 1-line block ×4, first 2 shown]
	s_waitcnt vmcnt(0)
	v_pk_mul_f32 v[32:33], v[32:33], v[28:29] op_sel_hi:[0,1]
	v_pk_fma_f32 v[44:45], v[4:5], v[26:27], v[36:37] op_sel:[0,0,1] op_sel_hi:[1,1,0] neg_lo:[0,0,1] neg_hi:[0,0,1]
	v_pk_fma_f32 v[4:5], v[4:5], v[26:27], v[36:37] op_sel:[0,0,1] op_sel_hi:[0,1,0]
	v_pk_fma_f32 v[26:27], v[8:9], v[18:19], v[34:35] op_sel:[0,0,1] op_sel_hi:[1,1,0] neg_lo:[0,0,1] neg_hi:[0,0,1]
	v_pk_fma_f32 v[8:9], v[8:9], v[18:19], v[34:35] op_sel:[0,0,1] op_sel_hi:[0,1,0]
	v_pk_fma_f32 v[18:19], v[12:13], v[22:23], v[30:31] op_sel:[0,0,1] op_sel_hi:[1,1,0] neg_lo:[0,0,1] neg_hi:[0,0,1]
	v_pk_fma_f32 v[12:13], v[12:13], v[22:23], v[30:31] op_sel:[0,0,1] op_sel_hi:[0,1,0]
	v_pk_fma_f32 v[22:23], v[10:11], v[24:25], v[42:43] op_sel:[0,0,1] op_sel_hi:[1,1,0] neg_lo:[0,0,1] neg_hi:[0,0,1]
	v_pk_fma_f32 v[10:11], v[10:11], v[24:25], v[42:43] op_sel:[0,0,1] op_sel_hi:[0,1,0]
	v_pk_fma_f32 v[24:25], v[14:15], v[28:29], v[32:33] op_sel:[0,0,1] op_sel_hi:[1,1,0] neg_lo:[0,0,1] neg_hi:[0,0,1]
	v_pk_fma_f32 v[14:15], v[14:15], v[28:29], v[32:33] op_sel:[0,0,1] op_sel_hi:[0,1,0]
	v_pk_fma_f32 v[28:29], v[2:3], v[16:17], v[38:39] op_sel:[0,0,1] op_sel_hi:[1,1,0] neg_lo:[0,0,1] neg_hi:[0,0,1]
	v_pk_fma_f32 v[2:3], v[2:3], v[16:17], v[38:39] op_sel:[0,0,1] op_sel_hi:[0,1,0]
	v_pk_fma_f32 v[16:17], v[6:7], v[20:21], v[40:41] op_sel:[0,0,1] op_sel_hi:[1,1,0] neg_lo:[0,0,1] neg_hi:[0,0,1]
	v_pk_fma_f32 v[6:7], v[6:7], v[20:21], v[40:41] op_sel:[0,0,1] op_sel_hi:[0,1,0]
	v_mov_b32_e32 v45, v5
	v_mov_b32_e32 v27, v9
	;; [unrolled: 1-line block ×7, first 2 shown]
	v_pk_add_f32 v[2:3], v[0:1], v[44:45] neg_lo:[0,1] neg_hi:[0,1]
	v_pk_add_f32 v[4:5], v[26:27], v[18:19] neg_lo:[0,1] neg_hi:[0,1]
	;; [unrolled: 1-line block ×4, first 2 shown]
	v_pk_fma_f32 v[0:1], v[0:1], 2.0, v[2:3] op_sel_hi:[1,0,1] neg_lo:[0,0,1] neg_hi:[0,0,1]
	v_pk_fma_f32 v[10:11], v[26:27], 2.0, v[4:5] op_sel_hi:[1,0,1] neg_lo:[0,0,1] neg_hi:[0,0,1]
	;; [unrolled: 1-line block ×4, first 2 shown]
	v_pk_add_f32 v[16:17], v[2:3], v[4:5] op_sel:[0,1] op_sel_hi:[1,0] neg_lo:[0,1] neg_hi:[0,1]
	v_pk_add_f32 v[4:5], v[2:3], v[4:5] op_sel:[0,1] op_sel_hi:[1,0]
	v_pk_add_f32 v[18:19], v[8:9], v[6:7] op_sel:[0,1] op_sel_hi:[1,0] neg_lo:[0,1] neg_hi:[0,1]
	v_pk_add_f32 v[6:7], v[8:9], v[6:7] op_sel:[0,1] op_sel_hi:[1,0]
	v_pk_add_f32 v[10:11], v[0:1], v[10:11] neg_lo:[0,1] neg_hi:[0,1]
	v_pk_add_f32 v[14:15], v[12:13], v[14:15] neg_lo:[0,1] neg_hi:[0,1]
	v_mov_b32_e32 v17, v5
	v_mov_b32_e32 v19, v7
	v_pk_fma_f32 v[4:5], v[12:13], 2.0, v[14:15] op_sel_hi:[1,0,1] neg_lo:[0,0,1] neg_hi:[0,0,1]
	v_pk_fma_f32 v[6:7], v[8:9], 2.0, v[18:19] op_sel_hi:[1,0,1] neg_lo:[0,0,1] neg_hi:[0,0,1]
	v_pk_fma_f32 v[2:3], v[2:3], 2.0, v[16:17] op_sel_hi:[1,0,1] neg_lo:[0,0,1] neg_hi:[0,0,1]
	v_pk_add_f32 v[8:9], v[10:11], v[14:15] op_sel:[0,1] op_sel_hi:[1,0] neg_lo:[0,1] neg_hi:[0,1]
	v_pk_add_f32 v[12:13], v[10:11], v[14:15] op_sel:[0,1] op_sel_hi:[1,0]
	v_pk_mul_f32 v[14:15], v[18:19], s[2:3] op_sel_hi:[1,0]
	v_pk_fma_f32 v[18:19], v[18:19], s[2:3], v[16:17] op_sel_hi:[1,0,1]
	v_pk_mul_f32 v[20:21], v[6:7], s[2:3] op_sel_hi:[1,0]
	v_pk_fma_f32 v[6:7], v[6:7], s[2:3], v[2:3] op_sel_hi:[1,0,1] neg_lo:[1,0,0] neg_hi:[1,0,0]
	v_mov_b32_e32 v9, v13
	v_pk_add_f32 v[12:13], v[18:19], v[14:15] op_sel:[0,1] op_sel_hi:[1,0] neg_lo:[0,1] neg_hi:[0,1]
	v_pk_add_f32 v[14:15], v[18:19], v[14:15] op_sel:[0,1] op_sel_hi:[1,0]
	v_pk_fma_f32 v[0:1], v[0:1], 2.0, v[10:11] op_sel_hi:[1,0,1] neg_lo:[0,0,1] neg_hi:[0,0,1]
	v_pk_add_f32 v[18:19], v[6:7], v[20:21] op_sel:[0,1] op_sel_hi:[1,0] neg_lo:[0,1] neg_hi:[0,1]
	v_pk_add_f32 v[6:7], v[6:7], v[20:21] op_sel:[0,1] op_sel_hi:[1,0]
	v_mov_b32_e32 v13, v15
	v_pk_add_f32 v[4:5], v[0:1], v[4:5] neg_lo:[0,1] neg_hi:[0,1]
	v_pk_fma_f32 v[10:11], v[10:11], 2.0, v[8:9] op_sel_hi:[1,0,1] neg_lo:[0,0,1] neg_hi:[0,0,1]
	v_mov_b32_e32 v19, v7
	v_pk_fma_f32 v[6:7], v[16:17], 2.0, v[12:13] op_sel_hi:[1,0,1] neg_lo:[0,0,1] neg_hi:[0,0,1]
	v_pk_fma_f32 v[0:1], v[0:1], 2.0, v[4:5] op_sel_hi:[1,0,1] neg_lo:[0,0,1] neg_hi:[0,0,1]
	;; [unrolled: 1-line block ×3, first 2 shown]
	ds_write2_b64 v46, v[10:11], v[6:7] offset0:20 offset1:30
	ds_write2_b64 v46, v[4:5], v[18:19] offset0:40 offset1:50
	ds_write2_b64 v46, v[0:1], v[2:3] offset1:10
	ds_write2_b64 v46, v[8:9], v[12:13] offset0:60 offset1:70
.LBB0_21:
	s_or_b64 exec, exec, s[6:7]
	v_mul_u32_u24_e32 v0, 5, v62
	v_lshlrev_b32_e32 v29, 3, v0
	s_waitcnt lgkmcnt(0)
	; wave barrier
	s_waitcnt lgkmcnt(0)
	global_load_dwordx4 v[16:19], v29, s[4:5] offset:560
	global_load_dwordx4 v[12:15], v29, s[4:5] offset:576
	global_load_dwordx2 v[58:59], v29, s[4:5] offset:592
	global_load_dwordx4 v[24:27], v29, s[4:5] offset:1200
	global_load_dwordx4 v[20:23], v29, s[4:5] offset:1216
	global_load_dwordx2 v[90:91], v29, s[4:5] offset:1232
	global_load_dwordx4 v[8:11], v29, s[4:5] offset:1840
	ds_read2_b64 v[30:33], v63 offset0:80 offset1:96
	ds_read2_b64 v[4:7], v63 offset0:144 offset1:160
	;; [unrolled: 1-line block ×5, first 2 shown]
	global_load_dwordx4 v[42:45], v29, s[4:5] offset:1856
	v_add_u32_e32 v46, 0x400, v63
	v_add_u32_e32 v115, 0x800, v63
	ds_read_b64 v[92:93], v81
	ds_read_b64 v[94:95], v63 offset:3712
	ds_read2_b64 v[46:49], v46 offset0:112 offset1:128
	ds_read2_b64 v[50:53], v115 offset0:48 offset1:64
	;; [unrolled: 1-line block ×5, first 2 shown]
	global_load_dwordx2 v[96:97], v29, s[4:5] offset:1872
	global_load_dwordx2 v[98:99], v29, s[4:5] offset:2512
	global_load_dwordx4 v[72:75], v29, s[4:5] offset:2496
	global_load_dwordx4 v[76:79], v29, s[4:5] offset:2480
	v_add_u32_e32 v29, 0xa00, v29
	v_lshl_add_u32 v28, v82, 3, v84
	global_load_dwordx2 v[100:101], v29, s[4:5] offset:592
	global_load_dwordx4 v[82:85], v29, s[4:5] offset:576
	global_load_dwordx4 v[86:89], v29, s[4:5] offset:560
	s_mov_b32 s0, 0x3f5db3d7
	s_mov_b32 s1, 0xbf5db3d7
	s_waitcnt vmcnt(14) lgkmcnt(11)
	v_pk_mul_f32 v[102:103], v[30:31], v[16:17] op_sel:[0,1]
	v_mov_b32_e32 v104, v19
	s_waitcnt vmcnt(13) lgkmcnt(4)
	v_pk_mul_f32 v[106:107], v[46:47], v[12:13] op_sel:[0,1]
	v_mov_b32_e32 v108, v15
	s_waitcnt vmcnt(12) lgkmcnt(2)
	v_pk_mul_f32 v[110:111], v[54:55], v[58:59] op_sel:[0,1]
	s_waitcnt vmcnt(11)
	v_pk_mul_f32 v[112:113], v[32:33], v[24:25] op_sel:[0,1]
	v_mov_b32_e32 v114, v27
	s_waitcnt vmcnt(10)
	v_pk_mul_f32 v[116:117], v[48:49], v[20:21] op_sel:[0,1]
	v_mov_b32_e32 v118, v23
	s_waitcnt vmcnt(9)
	v_pk_mul_f32 v[120:121], v[56:57], v[90:91] op_sel:[0,1]
	v_pk_fma_f32 v[122:123], v[30:31], v[16:17], v[102:103] op_sel:[0,0,1] op_sel_hi:[1,1,0] neg_lo:[0,0,1] neg_hi:[0,0,1]
	v_pk_fma_f32 v[16:17], v[30:31], v[16:17], v[102:103] op_sel:[0,0,1] op_sel_hi:[1,0,0]
	v_pk_mul_f32 v[30:31], v[6:7], v[104:105] op_sel_hi:[1,0]
	v_pk_fma_f32 v[102:103], v[32:33], v[24:25], v[112:113] op_sel:[0,0,1] op_sel_hi:[1,1,0] neg_lo:[0,0,1] neg_hi:[0,0,1]
	v_pk_fma_f32 v[24:25], v[32:33], v[24:25], v[112:113] op_sel:[0,0,1] op_sel_hi:[1,0,0]
	v_pk_fma_f32 v[32:33], v[46:47], v[12:13], v[106:107] op_sel:[0,0,1] op_sel_hi:[1,1,0] neg_lo:[0,0,1] neg_hi:[0,0,1]
	v_pk_fma_f32 v[12:13], v[46:47], v[12:13], v[106:107] op_sel:[0,0,1] op_sel_hi:[1,0,0]
	v_pk_mul_f32 v[46:47], v[52:53], v[108:109] op_sel_hi:[1,0]
	v_pk_fma_f32 v[104:105], v[54:55], v[58:59], v[110:111] op_sel:[0,0,1] op_sel_hi:[1,1,0] neg_lo:[0,0,1] neg_hi:[0,0,1]
	v_pk_fma_f32 v[54:55], v[54:55], v[58:59], v[110:111] op_sel:[0,0,1] op_sel_hi:[1,0,0]
	v_pk_mul_f32 v[58:59], v[34:35], v[114:115] op_sel_hi:[1,0]
	v_pk_fma_f32 v[106:107], v[48:49], v[20:21], v[116:117] op_sel:[0,0,1] op_sel_hi:[1,1,0] neg_lo:[0,0,1] neg_hi:[0,0,1]
	v_pk_fma_f32 v[20:21], v[48:49], v[20:21], v[116:117] op_sel:[0,0,1] op_sel_hi:[1,0,0]
	s_waitcnt lgkmcnt(1)
	v_pk_mul_f32 v[48:49], v[64:65], v[118:119] op_sel_hi:[1,0]
	v_pk_fma_f32 v[108:109], v[56:57], v[90:91], v[120:121] op_sel:[0,0,1] op_sel_hi:[1,1,0] neg_lo:[0,0,1] neg_hi:[0,0,1]
	v_pk_fma_f32 v[56:57], v[56:57], v[90:91], v[120:121] op_sel:[0,0,1] op_sel_hi:[1,0,0]
	v_mov_b32_e32 v123, v17
	v_pk_fma_f32 v[90:91], v[6:7], v[18:19], v[30:31] op_sel:[0,0,1] op_sel_hi:[1,1,0] neg_lo:[0,0,1] neg_hi:[0,0,1]
	v_pk_fma_f32 v[6:7], v[6:7], v[18:19], v[30:31] op_sel:[0,0,1] op_sel_hi:[1,0,0]
	v_mov_b32_e32 v33, v13
	;; [unrolled: 3-line block ×4, first 2 shown]
	v_mov_b32_e32 v107, v21
	v_pk_fma_f32 v[20:21], v[64:65], v[22:23], v[48:49] op_sel:[0,0,1] op_sel_hi:[1,1,0] neg_lo:[0,0,1] neg_hi:[0,0,1]
	v_pk_fma_f32 v[16:17], v[64:65], v[22:23], v[48:49] op_sel:[0,0,1] op_sel_hi:[1,0,0]
	v_mov_b32_e32 v91, v7
	v_pk_add_f32 v[6:7], v[122:123], v[32:33]
	v_mov_b32_e32 v25, v15
	v_mov_b32_e32 v21, v17
	v_pk_add_f32 v[22:23], v[6:7], v[104:105]
	v_pk_add_f32 v[6:7], v[0:1], v[24:25]
	v_mov_b32_e32 v109, v57
	v_pk_add_f32 v[46:47], v[6:7], v[20:21]
	s_waitcnt vmcnt(8)
	v_pk_mul_f32 v[6:7], v[38:39], v[8:9] op_sel:[0,1]
	v_mov_b32_e32 v31, v13
	v_pk_fma_f32 v[54:55], v[38:39], v[8:9], v[6:7] op_sel:[0,0,1] op_sel_hi:[1,1,0] neg_lo:[0,0,1] neg_hi:[0,0,1]
	v_pk_fma_f32 v[6:7], v[38:39], v[8:9], v[6:7] op_sel:[0,0,1] op_sel_hi:[1,0,0]
	v_pk_add_f32 v[12:13], v[102:103], v[106:107]
	v_mov_b32_e32 v6, v11
	v_mov_b32_e32 v55, v7
	v_pk_mul_f32 v[6:7], v[36:37], v[6:7] op_sel_hi:[1,0]
	v_pk_add_f32 v[14:15], v[92:93], v[90:91]
	v_pk_fma_f32 v[38:39], v[36:37], v[10:11], v[6:7] op_sel:[0,0,1] op_sel_hi:[1,1,0] neg_lo:[0,0,1] neg_hi:[0,0,1]
	v_pk_fma_f32 v[6:7], v[36:37], v[10:11], v[6:7] op_sel:[0,0,1] op_sel_hi:[1,0,0]
	v_pk_add_f32 v[26:27], v[12:13], v[108:109]
	v_pk_add_f32 v[34:35], v[14:15], v[30:31]
	ds_read2_b64 v[12:15], v115 offset0:176 offset1:192
	v_mov_b32_e32 v39, v7
	s_waitcnt vmcnt(7) lgkmcnt(1)
	v_pk_mul_f32 v[6:7], v[68:69], v[42:43] op_sel:[0,1]
	v_pk_add_f32 v[48:49], v[34:35], v[22:23]
	v_pk_fma_f32 v[36:37], v[68:69], v[42:43], v[6:7] op_sel:[0,0,1] op_sel_hi:[1,1,0] neg_lo:[0,0,1] neg_hi:[0,0,1]
	v_pk_fma_f32 v[6:7], v[68:69], v[42:43], v[6:7] op_sel:[0,0,1] op_sel_hi:[1,0,0]
	v_pk_add_f32 v[22:23], v[34:35], v[22:23] neg_lo:[0,1] neg_hi:[0,1]
	v_mov_b32_e32 v6, v45
	v_mov_b32_e32 v37, v7
	v_pk_mul_f32 v[6:7], v[66:67], v[6:7] op_sel_hi:[1,0]
	v_pk_add_f32 v[52:53], v[46:47], v[26:27]
	v_pk_fma_f32 v[42:43], v[66:67], v[44:45], v[6:7] op_sel:[0,0,1] op_sel_hi:[1,1,0] neg_lo:[0,0,1] neg_hi:[0,0,1]
	v_pk_fma_f32 v[6:7], v[66:67], v[44:45], v[6:7] op_sel:[0,0,1] op_sel_hi:[1,0,0]
	s_waitcnt vmcnt(3)
	v_pk_mul_f32 v[66:67], v[40:41], v[76:77] op_sel:[0,1]
	v_mov_b32_e32 v43, v7
	s_waitcnt lgkmcnt(0)
	v_pk_mul_f32 v[6:7], v[12:13], v[96:97] op_sel:[0,1]
	v_pk_fma_f32 v[68:69], v[40:41], v[76:77], v[66:67] op_sel:[0,0,1] op_sel_hi:[1,1,0] neg_lo:[0,0,1] neg_hi:[0,0,1]
	v_pk_fma_f32 v[44:45], v[12:13], v[96:97], v[6:7] op_sel:[0,0,1] op_sel_hi:[1,1,0] neg_lo:[0,0,1] neg_hi:[0,0,1]
	v_pk_fma_f32 v[6:7], v[12:13], v[96:97], v[6:7] op_sel:[0,0,1] op_sel_hi:[1,0,0]
	v_pk_fma_f32 v[40:41], v[40:41], v[76:77], v[66:67] op_sel:[0,0,1] op_sel_hi:[1,0,0]
	v_mov_b32_e32 v45, v7
	v_pk_add_f32 v[6:7], v[2:3], v[38:39]
	v_mov_b32_e32 v40, v79
	v_pk_add_f32 v[56:57], v[6:7], v[42:43]
	v_pk_add_f32 v[6:7], v[54:55], v[36:37]
	v_mov_b32_e32 v69, v41
	v_pk_add_f32 v[58:59], v[6:7], v[44:45]
	ds_read2_b64 v[6:9], v63 offset0:48 offset1:64
	ds_read2_b64 v[10:13], v63 offset0:208 offset1:224
	;; [unrolled: 1-line block ×3, first 2 shown]
	s_waitcnt lgkmcnt(0)
	; wave barrier
	s_waitcnt lgkmcnt(0)
	v_pk_add_f32 v[34:35], v[36:37], v[44:45]
	v_pk_mul_f32 v[40:41], v[10:11], v[40:41] op_sel_hi:[1,0]
	v_pk_fma_f32 v[34:35], v[34:35], 0.5, v[54:55] op_sel_hi:[1,0,1] neg_lo:[1,0,0] neg_hi:[1,0,0]
	v_pk_fma_f32 v[66:67], v[10:11], v[78:79], v[40:41] op_sel:[0,0,1] op_sel_hi:[1,1,0] neg_lo:[0,0,1] neg_hi:[0,0,1]
	v_pk_fma_f32 v[10:11], v[10:11], v[78:79], v[40:41] op_sel:[0,0,1] op_sel_hi:[1,0,0]
	v_pk_add_f32 v[36:37], v[36:37], v[44:45] neg_lo:[0,1] neg_hi:[0,1]
	v_mov_b32_e32 v67, v11
	v_pk_mul_f32 v[10:11], v[70:71], v[72:73] op_sel:[0,1]
	v_pk_add_f32 v[64:65], v[56:57], v[58:59]
	v_pk_fma_f32 v[40:41], v[70:71], v[72:73], v[10:11] op_sel:[0,0,1] op_sel_hi:[1,1,0] neg_lo:[0,0,1] neg_hi:[0,0,1]
	v_pk_fma_f32 v[10:11], v[70:71], v[72:73], v[10:11] op_sel:[0,0,1] op_sel_hi:[1,0,0]
	s_nop 0
	v_mov_b32_e32 v10, v75
	v_mov_b32_e32 v41, v11
	v_pk_mul_f32 v[10:11], v[16:17], v[10:11] op_sel_hi:[1,0]
	s_nop 0
	v_pk_fma_f32 v[70:71], v[16:17], v[74:75], v[10:11] op_sel:[0,0,1] op_sel_hi:[1,1,0] neg_lo:[0,0,1] neg_hi:[0,0,1]
	v_pk_fma_f32 v[10:11], v[16:17], v[74:75], v[10:11] op_sel:[0,0,1] op_sel_hi:[1,0,0]
	s_waitcnt vmcnt(0)
	v_pk_mul_f32 v[74:75], v[4:5], v[86:87] op_sel:[0,1]
	v_mov_b32_e32 v71, v11
	v_pk_fma_f32 v[76:77], v[4:5], v[86:87], v[74:75] op_sel:[0,0,1] op_sel_hi:[1,1,0] neg_lo:[0,0,1] neg_hi:[0,0,1]
	v_pk_fma_f32 v[4:5], v[4:5], v[86:87], v[74:75] op_sel:[0,0,1] op_sel_hi:[1,0,0]
	v_pk_mul_f32 v[10:11], v[14:15], v[98:99] op_sel:[0,1]
	v_mov_b32_e32 v4, v89
	v_mov_b32_e32 v77, v5
	v_pk_mul_f32 v[4:5], v[12:13], v[4:5] op_sel_hi:[1,0]
	v_pk_fma_f32 v[16:17], v[14:15], v[98:99], v[10:11] op_sel:[0,0,1] op_sel_hi:[1,1,0] neg_lo:[0,0,1] neg_hi:[0,0,1]
	v_pk_fma_f32 v[74:75], v[12:13], v[88:89], v[4:5] op_sel:[0,0,1] op_sel_hi:[1,1,0] neg_lo:[0,0,1] neg_hi:[0,0,1]
	v_pk_fma_f32 v[4:5], v[12:13], v[88:89], v[4:5] op_sel:[0,0,1] op_sel_hi:[1,0,0]
	v_pk_add_f32 v[88:89], v[32:33], v[104:105]
	v_mov_b32_e32 v75, v5
	v_pk_mul_f32 v[4:5], v[50:51], v[82:83] op_sel:[0,1]
	v_pk_fma_f32 v[88:89], v[88:89], 0.5, v[122:123] op_sel_hi:[1,0,1] neg_lo:[1,0,0] neg_hi:[1,0,0]
	v_pk_fma_f32 v[12:13], v[50:51], v[82:83], v[4:5] op_sel:[0,0,1] op_sel_hi:[1,1,0] neg_lo:[0,0,1] neg_hi:[0,0,1]
	v_pk_fma_f32 v[4:5], v[50:51], v[82:83], v[4:5] op_sel:[0,0,1] op_sel_hi:[1,0,0]
	v_pk_add_f32 v[32:33], v[32:33], v[104:105] neg_lo:[0,1] neg_hi:[0,1]
	v_mov_b32_e32 v4, v85
	v_mov_b32_e32 v13, v5
	v_pk_mul_f32 v[4:5], v[18:19], v[4:5] op_sel_hi:[1,0]
	v_pk_fma_f32 v[10:11], v[14:15], v[98:99], v[10:11] op_sel:[0,0,1] op_sel_hi:[1,0,0]
	v_pk_fma_f32 v[50:51], v[18:19], v[84:85], v[4:5] op_sel:[0,0,1] op_sel_hi:[1,1,0] neg_lo:[0,0,1] neg_hi:[0,0,1]
	v_pk_fma_f32 v[4:5], v[18:19], v[84:85], v[4:5] op_sel:[0,0,1] op_sel_hi:[1,0,0]
	v_pk_add_f32 v[84:85], v[90:91], v[30:31]
	v_pk_add_f32 v[30:31], v[90:91], v[30:31] neg_lo:[0,1] neg_hi:[0,1]
	v_pk_fma_f32 v[90:91], v[32:33], s[0:1], v[88:89] op_sel:[0,0,1] op_sel_hi:[1,0,0]
	v_pk_fma_f32 v[32:33], v[32:33], s[0:1], v[88:89] op_sel:[0,0,1] op_sel_hi:[1,0,0] neg_lo:[1,0,0] neg_hi:[1,0,0]
	v_pk_fma_f32 v[84:85], v[84:85], 0.5, v[92:93] op_sel_hi:[1,0,1] neg_lo:[1,0,0] neg_hi:[1,0,0]
	v_pk_mul_f32 v[30:31], v[30:31], s[0:1] op_sel_hi:[1,0]
	v_mov_b32_e32 v88, v90
	v_mov_b32_e32 v89, v33
	v_mul_f32_e32 v81, 0xbf5db3d7, v91
	v_pk_add_f32 v[86:87], v[30:31], v[84:85] op_sel:[1,0] op_sel_hi:[0,1]
	v_pk_add_f32 v[30:31], v[84:85], v[30:31] op_sel:[0,1] op_sel_hi:[1,0] neg_lo:[0,1] neg_hi:[0,1]
	v_mul_f32_e32 v29, 0x3f5db3d7, v32
	v_fmac_f32_e32 v81, 0.5, v32
	v_pk_mul_f32 v[32:33], v[88:89], 0.5 op_sel_hi:[1,0]
	v_mov_b32_e32 v84, v30
	v_mov_b32_e32 v85, v87
	v_pk_fma_f32 v[32:33], v[88:89], s[0:1], v[32:33] op_sel:[0,0,1] op_sel_hi:[1,1,0] neg_lo:[0,0,1] neg_hi:[0,0,1]
	v_fmac_f32_e32 v29, 0.5, v91
	v_pk_add_f32 v[88:89], v[84:85], v[32:33]
	v_add_f32_e32 v91, v31, v81
	v_sub_f32_e32 v30, v86, v29
	v_sub_f32_e32 v31, v31, v81
	ds_write2_b64 v63, v[88:89], v[22:23] offset0:160 offset1:240
	v_pk_add_f32 v[22:23], v[84:85], v[32:33] neg_lo:[0,1] neg_hi:[0,1]
	ds_write2_b64 v115, v[30:31], v[22:23] offset0:64 offset1:144
	ds_write2_b64 v63, v[48:49], v[52:53] offset1:16
	v_pk_add_f32 v[22:23], v[24:25], v[20:21]
	v_pk_add_f32 v[20:21], v[24:25], v[20:21] neg_lo:[0,1] neg_hi:[0,1]
	v_pk_add_f32 v[24:25], v[106:107], v[108:109]
	v_pk_fma_f32 v[0:1], v[22:23], 0.5, v[0:1] op_sel_hi:[1,0,1] neg_lo:[1,0,0] neg_hi:[1,0,0]
	v_pk_mul_f32 v[20:21], v[20:21], s[0:1] op_sel_hi:[1,0]
	v_pk_fma_f32 v[24:25], v[24:25], 0.5, v[102:103] op_sel_hi:[1,0,1] neg_lo:[1,0,0] neg_hi:[1,0,0]
	v_pk_add_f32 v[30:31], v[106:107], v[108:109] neg_lo:[0,1] neg_hi:[0,1]
	v_pk_add_f32 v[22:23], v[20:21], v[0:1] op_sel:[1,0] op_sel_hi:[0,1]
	v_pk_fma_f32 v[32:33], v[30:31], s[0:1], v[24:25] op_sel:[0,0,1] op_sel_hi:[1,0,0]
	v_pk_fma_f32 v[24:25], v[30:31], s[0:1], v[24:25] op_sel:[0,0,1] op_sel_hi:[1,0,0] neg_lo:[1,0,0] neg_hi:[1,0,0]
	v_pk_add_f32 v[0:1], v[0:1], v[20:21] op_sel:[0,1] op_sel_hi:[1,0] neg_lo:[0,1] neg_hi:[0,1]
	v_mov_b32_e32 v21, v23
	v_mov_b32_e32 v30, v32
	;; [unrolled: 1-line block ×3, first 2 shown]
	v_mul_f32_e32 v23, 0xbf5db3d7, v33
	v_mov_b32_e32 v20, v0
	v_mul_f32_e32 v0, 0x3f5db3d7, v24
	v_fmac_f32_e32 v23, 0.5, v24
	v_pk_mul_f32 v[24:25], v[30:31], 0.5 op_sel_hi:[1,0]
	v_fmac_f32_e32 v0, 0.5, v33
	v_pk_fma_f32 v[24:25], v[30:31], s[0:1], v[24:25] op_sel:[0,0,1] op_sel_hi:[1,1,0] neg_lo:[0,0,1] neg_hi:[0,0,1]
	v_add_f32_e32 v32, v22, v0
	v_pk_add_f32 v[30:31], v[20:21], v[24:25]
	v_pk_add_f32 v[20:21], v[20:21], v[24:25] neg_lo:[0,1] neg_hi:[0,1]
	v_pk_add_f32 v[24:25], v[38:39], v[42:43]
	v_add_f32_e32 v33, v1, v23
	v_pk_fma_f32 v[2:3], v[24:25], 0.5, v[2:3] op_sel_hi:[1,0,1] neg_lo:[1,0,0] neg_hi:[1,0,0]
	v_pk_add_f32 v[24:25], v[38:39], v[42:43] neg_lo:[0,1] neg_hi:[0,1]
	v_sub_f32_e32 v0, v22, v0
	v_pk_mul_f32 v[24:25], v[24:25], s[0:1] op_sel_hi:[1,0]
	v_sub_f32_e32 v1, v1, v23
	v_pk_add_f32 v[22:23], v[46:47], v[26:27] neg_lo:[0,1] neg_hi:[0,1]
	v_pk_add_f32 v[26:27], v[24:25], v[2:3] op_sel:[1,0] op_sel_hi:[0,1]
	v_pk_add_f32 v[2:3], v[2:3], v[24:25] op_sel:[0,1] op_sel_hi:[1,0] neg_lo:[0,1] neg_hi:[0,1]
	v_pk_fma_f32 v[38:39], v[36:37], s[0:1], v[34:35] op_sel:[0,0,1] op_sel_hi:[1,0,0]
	v_pk_fma_f32 v[34:35], v[36:37], s[0:1], v[34:35] op_sel:[0,0,1] op_sel_hi:[1,0,0] neg_lo:[1,0,0] neg_hi:[1,0,0]
	v_mov_b32_e32 v24, v2
	v_mov_b32_e32 v25, v27
	;; [unrolled: 1-line block ×4, first 2 shown]
	v_mul_f32_e32 v2, 0x3f5db3d7, v34
	v_mul_f32_e32 v27, 0xbf5db3d7, v39
	v_fmac_f32_e32 v2, 0.5, v39
	v_fmac_f32_e32 v27, 0.5, v34
	v_pk_mul_f32 v[34:35], v[36:37], 0.5 op_sel_hi:[1,0]
	v_mov_b32_e32 v17, v11
	v_pk_add_f32 v[10:11], v[6:7], v[66:67]
	v_pk_add_f32 v[14:15], v[68:69], v[40:41]
	v_add_f32_e32 v90, v86, v29
	v_add_f32_e32 v38, v26, v2
	;; [unrolled: 1-line block ×3, first 2 shown]
	v_pk_fma_f32 v[34:35], v[36:37], s[0:1], v[34:35] op_sel:[0,0,1] op_sel_hi:[1,1,0] neg_lo:[0,0,1] neg_hi:[0,0,1]
	v_sub_f32_e32 v2, v26, v2
	v_sub_f32_e32 v3, v3, v27
	v_pk_add_f32 v[26:27], v[56:57], v[58:59] neg_lo:[0,1] neg_hi:[0,1]
	v_add_u32_e32 v29, 0x800, v28
	v_pk_add_f32 v[10:11], v[10:11], v[70:71]
	v_pk_add_f32 v[14:15], v[14:15], v[16:17]
	;; [unrolled: 1-line block ×3, first 2 shown]
	ds_write2_b64 v28, v[32:33], v[38:39] offset0:96 offset1:112
	ds_write2_b64 v28, v[30:31], v[36:37] offset0:176 offset1:192
	ds_write2_b64 v29, v[22:23], v[26:27] offset1:16
	ds_write2_b64 v29, v[0:1], v[2:3] offset0:80 offset1:96
	v_pk_add_f32 v[0:1], v[24:25], v[34:35] neg_lo:[0,1] neg_hi:[0,1]
	v_pk_add_f32 v[72:73], v[10:11], v[14:15]
	ds_write2_b64 v29, v[20:21], v[0:1] offset0:160 offset1:176
	ds_write2_b64 v63, v[64:65], v[72:73] offset0:32 offset1:48
	v_pk_add_f32 v[0:1], v[66:67], v[70:71]
	v_pk_add_f32 v[2:3], v[66:67], v[70:71] neg_lo:[0,1] neg_hi:[0,1]
	v_pk_add_f32 v[20:21], v[40:41], v[16:17]
	v_pk_fma_f32 v[0:1], v[0:1], 0.5, v[6:7] op_sel_hi:[1,0,1] neg_lo:[1,0,0] neg_hi:[1,0,0]
	v_pk_mul_f32 v[2:3], v[2:3], s[0:1] op_sel_hi:[1,0]
	v_pk_fma_f32 v[20:21], v[20:21], 0.5, v[68:69] op_sel_hi:[1,0,1] neg_lo:[1,0,0] neg_hi:[1,0,0]
	v_pk_add_f32 v[16:17], v[40:41], v[16:17] neg_lo:[0,1] neg_hi:[0,1]
	v_pk_add_f32 v[6:7], v[2:3], v[0:1] op_sel:[1,0] op_sel_hi:[0,1]
	v_pk_add_f32 v[0:1], v[0:1], v[2:3] op_sel:[0,1] op_sel_hi:[1,0] neg_lo:[0,1] neg_hi:[0,1]
	v_pk_fma_f32 v[22:23], v[16:17], s[0:1], v[20:21] op_sel:[0,0,1] op_sel_hi:[1,0,0]
	v_pk_fma_f32 v[16:17], v[16:17], s[0:1], v[20:21] op_sel:[0,0,1] op_sel_hi:[1,0,0] neg_lo:[1,0,0] neg_hi:[1,0,0]
	v_mov_b32_e32 v51, v5
	v_pk_mul_f32 v[4:5], v[94:95], v[100:101] op_sel:[0,1]
	v_mov_b32_e32 v2, v0
	v_mov_b32_e32 v3, v7
	;; [unrolled: 1-line block ×4, first 2 shown]
	v_mul_f32_e32 v0, 0x3f5db3d7, v16
	v_mul_f32_e32 v7, 0xbf5db3d7, v23
	v_pk_fma_f32 v[18:19], v[94:95], v[100:101], v[4:5] op_sel:[0,0,1] op_sel_hi:[1,1,0] neg_lo:[0,0,1] neg_hi:[0,0,1]
	v_pk_fma_f32 v[4:5], v[94:95], v[100:101], v[4:5] op_sel:[0,0,1] op_sel_hi:[1,0,0]
	v_fmac_f32_e32 v0, 0.5, v23
	v_fmac_f32_e32 v7, 0.5, v16
	v_pk_mul_f32 v[16:17], v[20:21], 0.5 op_sel_hi:[1,0]
	v_mov_b32_e32 v19, v5
	v_add_f32_e32 v22, v6, v0
	v_add_f32_e32 v23, v1, v7
	v_pk_fma_f32 v[16:17], v[20:21], s[0:1], v[16:17] op_sel:[0,0,1] op_sel_hi:[1,1,0] neg_lo:[0,0,1] neg_hi:[0,0,1]
	v_sub_f32_e32 v0, v6, v0
	v_sub_f32_e32 v1, v1, v7
	v_pk_add_f32 v[6:7], v[10:11], v[14:15] neg_lo:[0,1] neg_hi:[0,1]
	v_pk_add_f32 v[10:11], v[74:75], v[50:51]
	v_pk_add_f32 v[4:5], v[8:9], v[74:75]
	;; [unrolled: 1-line block ×3, first 2 shown]
	v_pk_add_f32 v[2:3], v[2:3], v[16:17] neg_lo:[0,1] neg_hi:[0,1]
	v_pk_fma_f32 v[8:9], v[10:11], 0.5, v[8:9] op_sel_hi:[1,0,1] neg_lo:[1,0,0] neg_hi:[1,0,0]
	v_pk_add_f32 v[10:11], v[74:75], v[50:51] neg_lo:[0,1] neg_hi:[0,1]
	v_pk_add_f32 v[16:17], v[12:13], v[18:19]
	v_pk_add_f32 v[78:79], v[76:77], v[12:13]
	v_pk_mul_f32 v[10:11], v[10:11], s[0:1] op_sel_hi:[1,0]
	v_pk_fma_f32 v[16:17], v[16:17], 0.5, v[76:77] op_sel_hi:[1,0,1] neg_lo:[1,0,0] neg_hi:[1,0,0]
	v_pk_add_f32 v[12:13], v[12:13], v[18:19] neg_lo:[0,1] neg_hi:[0,1]
	v_pk_add_f32 v[78:79], v[78:79], v[18:19]
	v_pk_add_f32 v[14:15], v[10:11], v[8:9] op_sel:[1,0] op_sel_hi:[0,1]
	v_pk_add_f32 v[8:9], v[8:9], v[10:11] op_sel:[0,1] op_sel_hi:[1,0] neg_lo:[0,1] neg_hi:[0,1]
	v_pk_fma_f32 v[18:19], v[12:13], s[0:1], v[16:17] op_sel:[0,0,1] op_sel_hi:[1,0,0]
	v_pk_fma_f32 v[12:13], v[12:13], s[0:1], v[16:17] op_sel:[0,0,1] op_sel_hi:[1,0,0] neg_lo:[1,0,0] neg_hi:[1,0,0]
	v_mov_b32_e32 v10, v8
	v_mov_b32_e32 v11, v15
	;; [unrolled: 1-line block ×4, first 2 shown]
	v_mul_f32_e32 v8, 0x3f5db3d7, v12
	v_mul_f32_e32 v15, 0xbf5db3d7, v19
	v_pk_add_f32 v[4:5], v[4:5], v[50:51]
	v_fmac_f32_e32 v8, 0.5, v19
	v_fmac_f32_e32 v15, 0.5, v12
	v_pk_mul_f32 v[12:13], v[16:17], 0.5 op_sel_hi:[1,0]
	v_pk_add_f32 v[82:83], v[4:5], v[78:79]
	v_add_f32_e32 v18, v14, v8
	v_add_f32_e32 v19, v9, v15
	v_pk_fma_f32 v[12:13], v[16:17], s[0:1], v[12:13] op_sel:[0,0,1] op_sel_hi:[1,1,0] neg_lo:[0,0,1] neg_hi:[0,0,1]
	v_pk_add_f32 v[4:5], v[4:5], v[78:79] neg_lo:[0,1] neg_hi:[0,1]
	ds_write2_b64 v63, v[82:83], v[90:91] offset0:64 offset1:80
	v_pk_add_f32 v[16:17], v[10:11], v[12:13]
	v_sub_f32_e32 v8, v14, v8
	v_sub_f32_e32 v9, v9, v15
	ds_write2_b64 v28, v[22:23], v[18:19] offset0:128 offset1:144
	ds_write2_b64 v28, v[20:21], v[16:17] offset0:208 offset1:224
	;; [unrolled: 1-line block ×4, first 2 shown]
	v_pk_add_f32 v[0:1], v[10:11], v[12:13] neg_lo:[0,1] neg_hi:[0,1]
	ds_write2_b64 v29, v[2:3], v[0:1] offset0:192 offset1:208
	s_waitcnt lgkmcnt(0)
	; wave barrier
	s_waitcnt lgkmcnt(0)
	s_and_saveexec_b64 s[0:1], vcc
	s_cbranch_execz .LBB0_23
; %bb.22:
	v_lshl_add_u32 v8, v62, 3, v80
	ds_read2_b64 v[0:3], v8 offset1:16
	v_mov_b32_e32 v63, 0
	v_add_u32_e32 v4, 16, v62
	v_lshl_add_u64 v[6:7], v[62:63], 3, v[60:61]
	v_mov_b32_e32 v5, v63
	s_waitcnt lgkmcnt(0)
	global_store_dwordx2 v[6:7], v[0:1], off
	v_lshl_add_u64 v[0:1], v[4:5], 3, v[60:61]
	ds_read2_b64 v[4:7], v8 offset0:32 offset1:48
	global_store_dwordx2 v[0:1], v[2:3], off
	v_add_u32_e32 v0, 32, v62
	v_mov_b32_e32 v1, v63
	v_lshl_add_u64 v[0:1], v[0:1], 3, v[60:61]
	s_waitcnt lgkmcnt(0)
	global_store_dwordx2 v[0:1], v[4:5], off
	v_add_u32_e32 v0, 48, v62
	v_mov_b32_e32 v1, v63
	v_lshl_add_u64 v[4:5], v[0:1], 3, v[60:61]
	ds_read2_b64 v[0:3], v8 offset0:64 offset1:80
	global_store_dwordx2 v[4:5], v[6:7], off
	v_add_u32_e32 v4, 64, v62
	v_mov_b32_e32 v5, v63
	v_lshl_add_u64 v[4:5], v[4:5], 3, v[60:61]
	s_waitcnt lgkmcnt(0)
	global_store_dwordx2 v[4:5], v[0:1], off
	ds_read2_b64 v[4:7], v8 offset0:96 offset1:112
	v_add_u32_e32 v0, 0x50, v62
	v_mov_b32_e32 v1, v63
	v_lshl_add_u64 v[0:1], v[0:1], 3, v[60:61]
	global_store_dwordx2 v[0:1], v[2:3], off
	v_add_u32_e32 v0, 0x60, v62
	v_mov_b32_e32 v1, v63
	v_lshl_add_u64 v[0:1], v[0:1], 3, v[60:61]
	s_waitcnt lgkmcnt(0)
	global_store_dwordx2 v[0:1], v[4:5], off
	v_add_u32_e32 v0, 0x70, v62
	v_mov_b32_e32 v1, v63
	v_lshl_add_u64 v[4:5], v[0:1], 3, v[60:61]
	ds_read2_b64 v[0:3], v8 offset0:128 offset1:144
	global_store_dwordx2 v[4:5], v[6:7], off
	v_add_u32_e32 v4, 0x80, v62
	v_mov_b32_e32 v5, v63
	v_lshl_add_u64 v[4:5], v[4:5], 3, v[60:61]
	s_waitcnt lgkmcnt(0)
	global_store_dwordx2 v[4:5], v[0:1], off
	ds_read2_b64 v[4:7], v8 offset0:160 offset1:176
	v_add_u32_e32 v0, 0x90, v62
	v_mov_b32_e32 v1, v63
	v_lshl_add_u64 v[0:1], v[0:1], 3, v[60:61]
	;; [unrolled: 20-line block ×3, first 2 shown]
	global_store_dwordx2 v[0:1], v[2:3], off
	v_add_u32_e32 v0, 0xe0, v62
	v_mov_b32_e32 v1, v63
	v_lshl_add_u64 v[0:1], v[0:1], 3, v[60:61]
	s_waitcnt lgkmcnt(0)
	global_store_dwordx2 v[0:1], v[4:5], off
	v_add_u32_e32 v0, 0xf0, v62
	v_mov_b32_e32 v1, v63
	v_add_u32_e32 v8, 0x800, v8
	v_lshl_add_u64 v[4:5], v[0:1], 3, v[60:61]
	ds_read2_b64 v[0:3], v8 offset1:16
	global_store_dwordx2 v[4:5], v[6:7], off
	v_add_u32_e32 v4, 0x100, v62
	v_mov_b32_e32 v5, v63
	v_lshl_add_u64 v[4:5], v[4:5], 3, v[60:61]
	s_waitcnt lgkmcnt(0)
	global_store_dwordx2 v[4:5], v[0:1], off
	ds_read2_b64 v[4:7], v8 offset0:32 offset1:48
	v_add_u32_e32 v0, 0x110, v62
	v_mov_b32_e32 v1, v63
	v_lshl_add_u64 v[0:1], v[0:1], 3, v[60:61]
	global_store_dwordx2 v[0:1], v[2:3], off
	v_add_u32_e32 v0, 0x120, v62
	v_mov_b32_e32 v1, v63
	v_lshl_add_u64 v[0:1], v[0:1], 3, v[60:61]
	s_waitcnt lgkmcnt(0)
	global_store_dwordx2 v[0:1], v[4:5], off
	v_add_u32_e32 v0, 0x130, v62
	v_mov_b32_e32 v1, v63
	v_lshl_add_u64 v[4:5], v[0:1], 3, v[60:61]
	ds_read2_b64 v[0:3], v8 offset0:64 offset1:80
	global_store_dwordx2 v[4:5], v[6:7], off
	v_add_u32_e32 v4, 0x140, v62
	v_mov_b32_e32 v5, v63
	v_lshl_add_u64 v[4:5], v[4:5], 3, v[60:61]
	s_waitcnt lgkmcnt(0)
	global_store_dwordx2 v[4:5], v[0:1], off
	ds_read2_b64 v[4:7], v8 offset0:96 offset1:112
	v_add_u32_e32 v0, 0x150, v62
	v_mov_b32_e32 v1, v63
	v_lshl_add_u64 v[0:1], v[0:1], 3, v[60:61]
	global_store_dwordx2 v[0:1], v[2:3], off
	v_add_u32_e32 v0, 0x160, v62
	v_mov_b32_e32 v1, v63
	v_lshl_add_u64 v[0:1], v[0:1], 3, v[60:61]
	s_waitcnt lgkmcnt(0)
	global_store_dwordx2 v[0:1], v[4:5], off
	v_add_u32_e32 v0, 0x170, v62
	v_mov_b32_e32 v1, v63
	v_lshl_add_u64 v[4:5], v[0:1], 3, v[60:61]
	ds_read2_b64 v[0:3], v8 offset0:128 offset1:144
	;; [unrolled: 20-line block ×3, first 2 shown]
	global_store_dwordx2 v[4:5], v[6:7], off
	v_add_u32_e32 v4, 0x1c0, v62
	v_mov_b32_e32 v5, v63
	v_lshl_add_u64 v[4:5], v[4:5], 3, v[60:61]
	v_add_u32_e32 v62, 0x1d0, v62
	s_waitcnt lgkmcnt(0)
	global_store_dwordx2 v[4:5], v[0:1], off
	v_lshl_add_u64 v[0:1], v[62:63], 3, v[60:61]
	global_store_dwordx2 v[0:1], v[2:3], off
.LBB0_23:
	s_endpgm
	.section	.rodata,"a",@progbits
	.p2align	6, 0x0
	.amdhsa_kernel fft_rtc_fwd_len480_factors_10_8_6_wgs_64_tpt_16_halfLds_sp_ip_CI_unitstride_sbrr_C2R_dirReg
		.amdhsa_group_segment_fixed_size 0
		.amdhsa_private_segment_fixed_size 0
		.amdhsa_kernarg_size 88
		.amdhsa_user_sgpr_count 2
		.amdhsa_user_sgpr_dispatch_ptr 0
		.amdhsa_user_sgpr_queue_ptr 0
		.amdhsa_user_sgpr_kernarg_segment_ptr 1
		.amdhsa_user_sgpr_dispatch_id 0
		.amdhsa_user_sgpr_kernarg_preload_length 0
		.amdhsa_user_sgpr_kernarg_preload_offset 0
		.amdhsa_user_sgpr_private_segment_size 0
		.amdhsa_uses_dynamic_stack 0
		.amdhsa_enable_private_segment 0
		.amdhsa_system_sgpr_workgroup_id_x 1
		.amdhsa_system_sgpr_workgroup_id_y 0
		.amdhsa_system_sgpr_workgroup_id_z 0
		.amdhsa_system_sgpr_workgroup_info 0
		.amdhsa_system_vgpr_workitem_id 0
		.amdhsa_next_free_vgpr 133
		.amdhsa_next_free_sgpr 22
		.amdhsa_accum_offset 136
		.amdhsa_reserve_vcc 1
		.amdhsa_float_round_mode_32 0
		.amdhsa_float_round_mode_16_64 0
		.amdhsa_float_denorm_mode_32 3
		.amdhsa_float_denorm_mode_16_64 3
		.amdhsa_dx10_clamp 1
		.amdhsa_ieee_mode 1
		.amdhsa_fp16_overflow 0
		.amdhsa_tg_split 0
		.amdhsa_exception_fp_ieee_invalid_op 0
		.amdhsa_exception_fp_denorm_src 0
		.amdhsa_exception_fp_ieee_div_zero 0
		.amdhsa_exception_fp_ieee_overflow 0
		.amdhsa_exception_fp_ieee_underflow 0
		.amdhsa_exception_fp_ieee_inexact 0
		.amdhsa_exception_int_div_zero 0
	.end_amdhsa_kernel
	.text
.Lfunc_end0:
	.size	fft_rtc_fwd_len480_factors_10_8_6_wgs_64_tpt_16_halfLds_sp_ip_CI_unitstride_sbrr_C2R_dirReg, .Lfunc_end0-fft_rtc_fwd_len480_factors_10_8_6_wgs_64_tpt_16_halfLds_sp_ip_CI_unitstride_sbrr_C2R_dirReg
                                        ; -- End function
	.section	.AMDGPU.csdata,"",@progbits
; Kernel info:
; codeLenInByte = 12788
; NumSgprs: 28
; NumVgprs: 133
; NumAgprs: 0
; TotalNumVgprs: 133
; ScratchSize: 0
; MemoryBound: 0
; FloatMode: 240
; IeeeMode: 1
; LDSByteSize: 0 bytes/workgroup (compile time only)
; SGPRBlocks: 3
; VGPRBlocks: 16
; NumSGPRsForWavesPerEU: 28
; NumVGPRsForWavesPerEU: 133
; AccumOffset: 136
; Occupancy: 3
; WaveLimiterHint : 1
; COMPUTE_PGM_RSRC2:SCRATCH_EN: 0
; COMPUTE_PGM_RSRC2:USER_SGPR: 2
; COMPUTE_PGM_RSRC2:TRAP_HANDLER: 0
; COMPUTE_PGM_RSRC2:TGID_X_EN: 1
; COMPUTE_PGM_RSRC2:TGID_Y_EN: 0
; COMPUTE_PGM_RSRC2:TGID_Z_EN: 0
; COMPUTE_PGM_RSRC2:TIDIG_COMP_CNT: 0
; COMPUTE_PGM_RSRC3_GFX90A:ACCUM_OFFSET: 33
; COMPUTE_PGM_RSRC3_GFX90A:TG_SPLIT: 0
	.text
	.p2alignl 6, 3212836864
	.fill 256, 4, 3212836864
	.type	__hip_cuid_698e9ff3f0deef1d,@object ; @__hip_cuid_698e9ff3f0deef1d
	.section	.bss,"aw",@nobits
	.globl	__hip_cuid_698e9ff3f0deef1d
__hip_cuid_698e9ff3f0deef1d:
	.byte	0                               ; 0x0
	.size	__hip_cuid_698e9ff3f0deef1d, 1

	.ident	"AMD clang version 19.0.0git (https://github.com/RadeonOpenCompute/llvm-project roc-6.4.0 25133 c7fe45cf4b819c5991fe208aaa96edf142730f1d)"
	.section	".note.GNU-stack","",@progbits
	.addrsig
	.addrsig_sym __hip_cuid_698e9ff3f0deef1d
	.amdgpu_metadata
---
amdhsa.kernels:
  - .agpr_count:     0
    .args:
      - .actual_access:  read_only
        .address_space:  global
        .offset:         0
        .size:           8
        .value_kind:     global_buffer
      - .offset:         8
        .size:           8
        .value_kind:     by_value
      - .actual_access:  read_only
        .address_space:  global
        .offset:         16
        .size:           8
        .value_kind:     global_buffer
      - .actual_access:  read_only
        .address_space:  global
        .offset:         24
        .size:           8
        .value_kind:     global_buffer
      - .offset:         32
        .size:           8
        .value_kind:     by_value
      - .actual_access:  read_only
        .address_space:  global
        .offset:         40
        .size:           8
        .value_kind:     global_buffer
      - .actual_access:  read_only
        .address_space:  global
        .offset:         48
        .size:           8
        .value_kind:     global_buffer
      - .offset:         56
        .size:           4
        .value_kind:     by_value
      - .actual_access:  read_only
        .address_space:  global
        .offset:         64
        .size:           8
        .value_kind:     global_buffer
      - .actual_access:  read_only
        .address_space:  global
        .offset:         72
        .size:           8
        .value_kind:     global_buffer
      - .address_space:  global
        .offset:         80
        .size:           8
        .value_kind:     global_buffer
    .group_segment_fixed_size: 0
    .kernarg_segment_align: 8
    .kernarg_segment_size: 88
    .language:       OpenCL C
    .language_version:
      - 2
      - 0
    .max_flat_workgroup_size: 64
    .name:           fft_rtc_fwd_len480_factors_10_8_6_wgs_64_tpt_16_halfLds_sp_ip_CI_unitstride_sbrr_C2R_dirReg
    .private_segment_fixed_size: 0
    .sgpr_count:     28
    .sgpr_spill_count: 0
    .symbol:         fft_rtc_fwd_len480_factors_10_8_6_wgs_64_tpt_16_halfLds_sp_ip_CI_unitstride_sbrr_C2R_dirReg.kd
    .uniform_work_group_size: 1
    .uses_dynamic_stack: false
    .vgpr_count:     133
    .vgpr_spill_count: 0
    .wavefront_size: 64
amdhsa.target:   amdgcn-amd-amdhsa--gfx950
amdhsa.version:
  - 1
  - 2
...

	.end_amdgpu_metadata
